;; amdgpu-corpus repo=ROCm/rocFFT kind=compiled arch=gfx1030 opt=O3
	.text
	.amdgcn_target "amdgcn-amd-amdhsa--gfx1030"
	.amdhsa_code_object_version 6
	.protected	fft_rtc_fwd_len1512_factors_2_2_2_3_3_3_7_wgs_63_tpt_63_halfLds_dp_op_CI_CI_unitstride_sbrr_C2R_dirReg ; -- Begin function fft_rtc_fwd_len1512_factors_2_2_2_3_3_3_7_wgs_63_tpt_63_halfLds_dp_op_CI_CI_unitstride_sbrr_C2R_dirReg
	.globl	fft_rtc_fwd_len1512_factors_2_2_2_3_3_3_7_wgs_63_tpt_63_halfLds_dp_op_CI_CI_unitstride_sbrr_C2R_dirReg
	.p2align	8
	.type	fft_rtc_fwd_len1512_factors_2_2_2_3_3_3_7_wgs_63_tpt_63_halfLds_dp_op_CI_CI_unitstride_sbrr_C2R_dirReg,@function
fft_rtc_fwd_len1512_factors_2_2_2_3_3_3_7_wgs_63_tpt_63_halfLds_dp_op_CI_CI_unitstride_sbrr_C2R_dirReg: ; @fft_rtc_fwd_len1512_factors_2_2_2_3_3_3_7_wgs_63_tpt_63_halfLds_dp_op_CI_CI_unitstride_sbrr_C2R_dirReg
; %bb.0:
	s_clause 0x2
	s_load_dwordx4 s[12:15], s[4:5], 0x0
	s_load_dwordx4 s[8:11], s[4:5], 0x58
	;; [unrolled: 1-line block ×3, first 2 shown]
	v_mul_u32_u24_e32 v1, 0x411, v0
	v_mov_b32_e32 v3, 0
	v_add_nc_u32_sdwa v5, s6, v1 dst_sel:DWORD dst_unused:UNUSED_PAD src0_sel:DWORD src1_sel:WORD_1
	v_mov_b32_e32 v1, 0
	v_mov_b32_e32 v6, v3
	v_mov_b32_e32 v2, 0
	s_waitcnt lgkmcnt(0)
	v_cmp_lt_u64_e64 s0, s[14:15], 2
	s_and_b32 vcc_lo, exec_lo, s0
	s_cbranch_vccnz .LBB0_8
; %bb.1:
	s_load_dwordx2 s[0:1], s[4:5], 0x10
	v_mov_b32_e32 v1, 0
	v_mov_b32_e32 v2, 0
	s_add_u32 s2, s18, 8
	s_addc_u32 s3, s19, 0
	s_add_u32 s6, s16, 8
	s_addc_u32 s7, s17, 0
	v_mov_b32_e32 v185, v2
	v_mov_b32_e32 v184, v1
	s_mov_b64 s[22:23], 1
	s_waitcnt lgkmcnt(0)
	s_add_u32 s20, s0, 8
	s_addc_u32 s21, s1, 0
.LBB0_2:                                ; =>This Inner Loop Header: Depth=1
	s_load_dwordx2 s[24:25], s[20:21], 0x0
                                        ; implicit-def: $vgpr188_vgpr189
	s_mov_b32 s0, exec_lo
	s_waitcnt lgkmcnt(0)
	v_or_b32_e32 v4, s25, v6
	v_cmpx_ne_u64_e32 0, v[3:4]
	s_xor_b32 s1, exec_lo, s0
	s_cbranch_execz .LBB0_4
; %bb.3:                                ;   in Loop: Header=BB0_2 Depth=1
	v_cvt_f32_u32_e32 v4, s24
	v_cvt_f32_u32_e32 v7, s25
	s_sub_u32 s0, 0, s24
	s_subb_u32 s26, 0, s25
	v_fmac_f32_e32 v4, 0x4f800000, v7
	v_rcp_f32_e32 v4, v4
	v_mul_f32_e32 v4, 0x5f7ffffc, v4
	v_mul_f32_e32 v7, 0x2f800000, v4
	v_trunc_f32_e32 v7, v7
	v_fmac_f32_e32 v4, 0xcf800000, v7
	v_cvt_u32_f32_e32 v7, v7
	v_cvt_u32_f32_e32 v4, v4
	v_mul_lo_u32 v8, s0, v7
	v_mul_hi_u32 v9, s0, v4
	v_mul_lo_u32 v10, s26, v4
	v_add_nc_u32_e32 v8, v9, v8
	v_mul_lo_u32 v9, s0, v4
	v_add_nc_u32_e32 v8, v8, v10
	v_mul_hi_u32 v10, v4, v9
	v_mul_lo_u32 v11, v4, v8
	v_mul_hi_u32 v12, v4, v8
	v_mul_hi_u32 v13, v7, v9
	v_mul_lo_u32 v9, v7, v9
	v_mul_hi_u32 v14, v7, v8
	v_mul_lo_u32 v8, v7, v8
	v_add_co_u32 v10, vcc_lo, v10, v11
	v_add_co_ci_u32_e32 v11, vcc_lo, 0, v12, vcc_lo
	v_add_co_u32 v9, vcc_lo, v10, v9
	v_add_co_ci_u32_e32 v9, vcc_lo, v11, v13, vcc_lo
	v_add_co_ci_u32_e32 v10, vcc_lo, 0, v14, vcc_lo
	v_add_co_u32 v8, vcc_lo, v9, v8
	v_add_co_ci_u32_e32 v9, vcc_lo, 0, v10, vcc_lo
	v_add_co_u32 v4, vcc_lo, v4, v8
	v_add_co_ci_u32_e32 v7, vcc_lo, v7, v9, vcc_lo
	v_mul_hi_u32 v8, s0, v4
	v_mul_lo_u32 v10, s26, v4
	v_mul_lo_u32 v9, s0, v7
	v_add_nc_u32_e32 v8, v8, v9
	v_mul_lo_u32 v9, s0, v4
	v_add_nc_u32_e32 v8, v8, v10
	v_mul_hi_u32 v10, v4, v9
	v_mul_lo_u32 v11, v4, v8
	v_mul_hi_u32 v12, v4, v8
	v_mul_hi_u32 v13, v7, v9
	v_mul_lo_u32 v9, v7, v9
	v_mul_hi_u32 v14, v7, v8
	v_mul_lo_u32 v8, v7, v8
	v_add_co_u32 v10, vcc_lo, v10, v11
	v_add_co_ci_u32_e32 v11, vcc_lo, 0, v12, vcc_lo
	v_add_co_u32 v9, vcc_lo, v10, v9
	v_add_co_ci_u32_e32 v9, vcc_lo, v11, v13, vcc_lo
	v_add_co_ci_u32_e32 v10, vcc_lo, 0, v14, vcc_lo
	v_add_co_u32 v8, vcc_lo, v9, v8
	v_add_co_ci_u32_e32 v9, vcc_lo, 0, v10, vcc_lo
	v_add_co_u32 v4, vcc_lo, v4, v8
	v_add_co_ci_u32_e32 v11, vcc_lo, v7, v9, vcc_lo
	v_mul_hi_u32 v13, v5, v4
	v_mad_u64_u32 v[9:10], null, v6, v4, 0
	v_mad_u64_u32 v[7:8], null, v5, v11, 0
	;; [unrolled: 1-line block ×3, first 2 shown]
	v_add_co_u32 v4, vcc_lo, v13, v7
	v_add_co_ci_u32_e32 v7, vcc_lo, 0, v8, vcc_lo
	v_add_co_u32 v4, vcc_lo, v4, v9
	v_add_co_ci_u32_e32 v4, vcc_lo, v7, v10, vcc_lo
	v_add_co_ci_u32_e32 v7, vcc_lo, 0, v12, vcc_lo
	v_add_co_u32 v4, vcc_lo, v4, v11
	v_add_co_ci_u32_e32 v9, vcc_lo, 0, v7, vcc_lo
	v_mul_lo_u32 v10, s25, v4
	v_mad_u64_u32 v[7:8], null, s24, v4, 0
	v_mul_lo_u32 v11, s24, v9
	v_sub_co_u32 v7, vcc_lo, v5, v7
	v_add3_u32 v8, v8, v11, v10
	v_sub_nc_u32_e32 v10, v6, v8
	v_subrev_co_ci_u32_e64 v10, s0, s25, v10, vcc_lo
	v_add_co_u32 v11, s0, v4, 2
	v_add_co_ci_u32_e64 v12, s0, 0, v9, s0
	v_sub_co_u32 v13, s0, v7, s24
	v_sub_co_ci_u32_e32 v8, vcc_lo, v6, v8, vcc_lo
	v_subrev_co_ci_u32_e64 v10, s0, 0, v10, s0
	v_cmp_le_u32_e32 vcc_lo, s24, v13
	v_cmp_eq_u32_e64 s0, s25, v8
	v_cndmask_b32_e64 v13, 0, -1, vcc_lo
	v_cmp_le_u32_e32 vcc_lo, s25, v10
	v_cndmask_b32_e64 v14, 0, -1, vcc_lo
	v_cmp_le_u32_e32 vcc_lo, s24, v7
	;; [unrolled: 2-line block ×3, first 2 shown]
	v_cndmask_b32_e64 v15, 0, -1, vcc_lo
	v_cmp_eq_u32_e32 vcc_lo, s25, v10
	v_cndmask_b32_e64 v7, v15, v7, s0
	v_cndmask_b32_e32 v10, v14, v13, vcc_lo
	v_add_co_u32 v13, vcc_lo, v4, 1
	v_add_co_ci_u32_e32 v14, vcc_lo, 0, v9, vcc_lo
	v_cmp_ne_u32_e32 vcc_lo, 0, v10
	v_cndmask_b32_e32 v8, v14, v12, vcc_lo
	v_cndmask_b32_e32 v10, v13, v11, vcc_lo
	v_cmp_ne_u32_e32 vcc_lo, 0, v7
	v_cndmask_b32_e32 v189, v9, v8, vcc_lo
	v_cndmask_b32_e32 v188, v4, v10, vcc_lo
.LBB0_4:                                ;   in Loop: Header=BB0_2 Depth=1
	s_andn2_saveexec_b32 s0, s1
	s_cbranch_execz .LBB0_6
; %bb.5:                                ;   in Loop: Header=BB0_2 Depth=1
	v_cvt_f32_u32_e32 v4, s24
	s_sub_i32 s1, 0, s24
	v_mov_b32_e32 v189, v3
	v_rcp_iflag_f32_e32 v4, v4
	v_mul_f32_e32 v4, 0x4f7ffffe, v4
	v_cvt_u32_f32_e32 v4, v4
	v_mul_lo_u32 v7, s1, v4
	v_mul_hi_u32 v7, v4, v7
	v_add_nc_u32_e32 v4, v4, v7
	v_mul_hi_u32 v4, v5, v4
	v_mul_lo_u32 v7, v4, s24
	v_add_nc_u32_e32 v8, 1, v4
	v_sub_nc_u32_e32 v7, v5, v7
	v_subrev_nc_u32_e32 v9, s24, v7
	v_cmp_le_u32_e32 vcc_lo, s24, v7
	v_cndmask_b32_e32 v7, v7, v9, vcc_lo
	v_cndmask_b32_e32 v4, v4, v8, vcc_lo
	v_cmp_le_u32_e32 vcc_lo, s24, v7
	v_add_nc_u32_e32 v8, 1, v4
	v_cndmask_b32_e32 v188, v4, v8, vcc_lo
.LBB0_6:                                ;   in Loop: Header=BB0_2 Depth=1
	s_or_b32 exec_lo, exec_lo, s0
	v_mul_lo_u32 v4, v189, s24
	v_mul_lo_u32 v9, v188, s25
	s_load_dwordx2 s[0:1], s[6:7], 0x0
	v_mad_u64_u32 v[7:8], null, v188, s24, 0
	s_load_dwordx2 s[24:25], s[2:3], 0x0
	s_add_u32 s22, s22, 1
	s_addc_u32 s23, s23, 0
	s_add_u32 s2, s2, 8
	s_addc_u32 s3, s3, 0
	s_add_u32 s6, s6, 8
	v_add3_u32 v4, v8, v9, v4
	v_sub_co_u32 v5, vcc_lo, v5, v7
	s_addc_u32 s7, s7, 0
	s_add_u32 s20, s20, 8
	v_sub_co_ci_u32_e32 v4, vcc_lo, v6, v4, vcc_lo
	s_addc_u32 s21, s21, 0
	s_waitcnt lgkmcnt(0)
	v_mul_lo_u32 v6, s0, v4
	v_mul_lo_u32 v7, s1, v5
	v_mad_u64_u32 v[1:2], null, s0, v5, v[1:2]
	v_mul_lo_u32 v4, s24, v4
	v_mul_lo_u32 v8, s25, v5
	v_mad_u64_u32 v[184:185], null, s24, v5, v[184:185]
	v_cmp_ge_u64_e64 s0, s[22:23], s[14:15]
	v_add3_u32 v2, v7, v2, v6
	v_add3_u32 v185, v8, v185, v4
	s_and_b32 vcc_lo, exec_lo, s0
	s_cbranch_vccnz .LBB0_9
; %bb.7:                                ;   in Loop: Header=BB0_2 Depth=1
	v_mov_b32_e32 v5, v188
	v_mov_b32_e32 v6, v189
	s_branch .LBB0_2
.LBB0_8:
	v_mov_b32_e32 v185, v2
	v_mov_b32_e32 v189, v6
	;; [unrolled: 1-line block ×4, first 2 shown]
.LBB0_9:
	s_load_dwordx2 s[0:1], s[4:5], 0x28
	v_mul_hi_u32 v3, 0x4104105, v0
	s_lshl_b64 s[4:5], s[14:15], 3
                                        ; implicit-def: $vgpr186
	s_add_u32 s2, s18, s4
	s_addc_u32 s3, s19, s5
	s_waitcnt lgkmcnt(0)
	v_cmp_gt_u64_e32 vcc_lo, s[0:1], v[188:189]
	v_cmp_le_u64_e64 s0, s[0:1], v[188:189]
	s_and_saveexec_b32 s1, s0
	s_xor_b32 s0, exec_lo, s1
; %bb.10:
	v_mul_u32_u24_e32 v1, 63, v3
                                        ; implicit-def: $vgpr3
	v_sub_nc_u32_e32 v186, v0, v1
                                        ; implicit-def: $vgpr0
                                        ; implicit-def: $vgpr1_vgpr2
; %bb.11:
	s_or_saveexec_b32 s1, s0
	s_load_dwordx2 s[2:3], s[2:3], 0x0
	s_xor_b32 exec_lo, exec_lo, s1
	s_cbranch_execz .LBB0_15
; %bb.12:
	s_add_u32 s4, s16, s4
	s_addc_u32 s5, s17, s5
	v_lshlrev_b64 v[1:2], 4, v[1:2]
	s_load_dwordx2 s[4:5], s[4:5], 0x0
	s_waitcnt lgkmcnt(0)
	v_mul_lo_u32 v6, s5, v188
	v_mul_lo_u32 v7, s4, v189
	v_mad_u64_u32 v[4:5], null, s4, v188, 0
	v_add3_u32 v5, v5, v7, v6
	v_mul_u32_u24_e32 v6, 63, v3
	v_lshlrev_b64 v[3:4], 4, v[4:5]
	v_sub_nc_u32_e32 v186, v0, v6
	v_lshlrev_b32_e32 v98, 4, v186
	v_add_co_u32 v0, s0, s8, v3
	v_add_co_ci_u32_e64 v3, s0, s9, v4, s0
	v_add_co_u32 v0, s0, v0, v1
	v_add_co_ci_u32_e64 v1, s0, v3, v2, s0
	;; [unrolled: 2-line block ×3, first 2 shown]
	s_clause 0x1
	global_load_dwordx4 v[2:5], v[42:43], off
	global_load_dwordx4 v[6:9], v[42:43], off offset:1008
	v_add_co_u32 v18, s0, 0x800, v42
	v_add_co_ci_u32_e64 v19, s0, 0, v43, s0
	v_add_co_u32 v26, s0, 0x1000, v42
	v_add_co_ci_u32_e64 v27, s0, 0, v43, s0
	;; [unrolled: 2-line block ×11, first 2 shown]
	s_clause 0x15
	global_load_dwordx4 v[10:13], v[42:43], off offset:2016
	global_load_dwordx4 v[14:17], v[18:19], off offset:976
	global_load_dwordx4 v[18:21], v[18:19], off offset:1984
	global_load_dwordx4 v[22:25], v[26:27], off offset:944
	global_load_dwordx4 v[26:29], v[26:27], off offset:1952
	global_load_dwordx4 v[30:33], v[34:35], off offset:912
	global_load_dwordx4 v[34:37], v[34:35], off offset:1920
	global_load_dwordx4 v[38:41], v[44:45], off offset:880
	global_load_dwordx4 v[42:45], v[44:45], off offset:1888
	global_load_dwordx4 v[46:49], v[50:51], off offset:848
	global_load_dwordx4 v[50:53], v[50:51], off offset:1856
	global_load_dwordx4 v[54:57], v[58:59], off offset:816
	global_load_dwordx4 v[58:61], v[58:59], off offset:1824
	global_load_dwordx4 v[62:65], v[66:67], off offset:784
	global_load_dwordx4 v[66:69], v[66:67], off offset:1792
	global_load_dwordx4 v[70:73], v[74:75], off offset:752
	global_load_dwordx4 v[74:77], v[74:75], off offset:1760
	global_load_dwordx4 v[78:81], v[82:83], off offset:720
	global_load_dwordx4 v[82:85], v[82:83], off offset:1728
	global_load_dwordx4 v[86:89], v[90:91], off offset:688
	global_load_dwordx4 v[90:93], v[90:91], off offset:1696
	global_load_dwordx4 v[94:97], v[94:95], off offset:656
	v_add_nc_u32_e32 v98, 0, v98
	v_cmp_eq_u32_e64 s0, 62, v186
	s_waitcnt vmcnt(23)
	ds_write_b128 v98, v[2:5]
	s_waitcnt vmcnt(22)
	ds_write_b128 v98, v[6:9] offset:1008
	s_waitcnt vmcnt(21)
	ds_write_b128 v98, v[10:13] offset:2016
	;; [unrolled: 2-line block ×23, first 2 shown]
	s_and_saveexec_b32 s4, s0
	s_cbranch_execz .LBB0_14
; %bb.13:
	v_add_co_u32 v0, s0, 0x5800, v0
	v_add_co_ci_u32_e64 v1, s0, 0, v1, s0
	v_mov_b32_e32 v4, 0
	v_mov_b32_e32 v186, 62
	global_load_dwordx4 v[0:3], v[0:1], off offset:1664
	s_waitcnt vmcnt(0)
	ds_write_b128 v4, v[0:3] offset:24192
.LBB0_14:
	s_or_b32 exec_lo, exec_lo, s4
.LBB0_15:
	s_or_b32 exec_lo, exec_lo, s1
	v_lshlrev_b32_e32 v0, 4, v186
	s_waitcnt lgkmcnt(0)
	s_barrier
	buffer_gl0_inv
	s_add_u32 s1, s12, 0x5e60
	v_add_nc_u32_e32 v192, 0, v0
	v_sub_nc_u32_e32 v14, 0, v0
	s_addc_u32 s4, s13, 0
	s_mov_b32 s5, exec_lo
                                        ; implicit-def: $vgpr4_vgpr5
	ds_read_b64 v[6:7], v192
	ds_read_b64 v[8:9], v14 offset:24192
	s_waitcnt lgkmcnt(0)
	v_add_f64 v[0:1], v[6:7], v[8:9]
	v_add_f64 v[2:3], v[6:7], -v[8:9]
	v_cmpx_ne_u32_e32 0, v186
	s_xor_b32 s5, exec_lo, s5
	s_cbranch_execz .LBB0_17
; %bb.16:
	v_mov_b32_e32 v187, 0
	v_add_f64 v[12:13], v[6:7], v[8:9]
	v_add_f64 v[15:16], v[6:7], -v[8:9]
	v_lshlrev_b64 v[0:1], 4, v[186:187]
	v_add_co_u32 v0, s0, s1, v0
	v_add_co_ci_u32_e64 v1, s0, s4, v1, s0
	global_load_dwordx4 v[2:5], v[0:1], off
	ds_read_b64 v[0:1], v14 offset:24200
	ds_read_b64 v[10:11], v192 offset:8
	s_waitcnt lgkmcnt(0)
	v_add_f64 v[6:7], v[0:1], v[10:11]
	v_add_f64 v[0:1], v[10:11], -v[0:1]
	s_waitcnt vmcnt(0)
	v_fma_f64 v[8:9], v[15:16], v[4:5], v[12:13]
	v_fma_f64 v[10:11], -v[15:16], v[4:5], v[12:13]
	v_fma_f64 v[12:13], v[6:7], v[4:5], -v[0:1]
	v_fma_f64 v[4:5], v[6:7], v[4:5], v[0:1]
	v_fma_f64 v[0:1], -v[6:7], v[2:3], v[8:9]
	v_fma_f64 v[6:7], v[6:7], v[2:3], v[10:11]
	v_fma_f64 v[8:9], v[15:16], v[2:3], v[12:13]
	;; [unrolled: 1-line block ×3, first 2 shown]
	v_mov_b32_e32 v4, v186
	v_mov_b32_e32 v5, v187
	ds_write_b128 v14, v[6:9] offset:24192
.LBB0_17:
	s_andn2_saveexec_b32 s0, s5
	s_cbranch_execz .LBB0_19
; %bb.18:
	v_mov_b32_e32 v12, 0
	ds_read_b128 v[4:7], v12 offset:12096
	s_waitcnt lgkmcnt(0)
	v_add_f64 v[8:9], v[4:5], v[4:5]
	v_mul_f64 v[10:11], v[6:7], -2.0
	v_mov_b32_e32 v4, 0
	v_mov_b32_e32 v5, 0
	ds_write_b128 v12, v[8:11] offset:12096
.LBB0_19:
	s_or_b32 exec_lo, exec_lo, s0
	v_lshlrev_b64 v[4:5], 4, v[4:5]
	v_add_nc_u32_e32 v69, 63, v186
	v_add_nc_u32_e32 v187, 0xbd, v186
	;; [unrolled: 1-line block ×5, first 2 shown]
	v_add_co_u32 v4, s0, s1, v4
	v_add_co_ci_u32_e64 v5, s0, s4, v5, s0
	v_add_nc_u32_e32 v67, 0x17a, v186
	v_add_co_u32 v23, s0, 0x800, v4
	s_clause 0x1
	global_load_dwordx4 v[6:9], v[4:5], off offset:1008
	global_load_dwordx4 v[10:13], v[4:5], off offset:2016
	v_add_co_ci_u32_e64 v24, s0, 0, v5, s0
	ds_write_b128 v192, v[0:3]
	v_add_nc_u32_e32 v68, 0x1b9, v186
	v_lshl_add_u32 v62, v187, 5, 0
	global_load_dwordx4 v[15:18], v[23:24], off offset:976
	ds_read_b128 v[0:3], v192 offset:1008
	ds_read_b128 v[19:22], v14 offset:23184
	global_load_dwordx4 v[23:26], v[23:24], off offset:1984
	v_lshl_add_u32 v63, v65, 5, 0
	v_lshl_add_u32 v114, v66, 5, 0
	;; [unrolled: 1-line block ×4, first 2 shown]
	v_lshlrev_b32_e32 v190, 1, v186
	s_mov_b32 s4, 0xe8584caa
	s_mov_b32 s5, 0x3febb67a
	;; [unrolled: 1-line block ×4, first 2 shown]
	s_waitcnt lgkmcnt(0)
	v_add_f64 v[27:28], v[0:1], v[19:20]
	v_add_f64 v[29:30], v[21:22], v[2:3]
	v_add_f64 v[31:32], v[0:1], -v[19:20]
	v_add_f64 v[0:1], v[2:3], -v[21:22]
	s_waitcnt vmcnt(3)
	v_fma_f64 v[2:3], v[31:32], v[8:9], v[27:28]
	v_fma_f64 v[19:20], v[29:30], v[8:9], v[0:1]
	v_fma_f64 v[21:22], -v[31:32], v[8:9], v[27:28]
	v_fma_f64 v[8:9], v[29:30], v[8:9], -v[0:1]
	v_add_co_u32 v27, s0, 0x1000, v4
	v_add_co_ci_u32_e64 v28, s0, 0, v5, s0
	v_fma_f64 v[0:1], -v[29:30], v[6:7], v[2:3]
	v_fma_f64 v[2:3], v[31:32], v[6:7], v[19:20]
	v_fma_f64 v[19:20], v[29:30], v[6:7], v[21:22]
	;; [unrolled: 1-line block ×3, first 2 shown]
	ds_write_b128 v192, v[0:3] offset:1008
	ds_write_b128 v14, v[19:22] offset:23184
	ds_read_b128 v[0:3], v192 offset:2016
	ds_read_b128 v[6:9], v14 offset:22176
	global_load_dwordx4 v[19:22], v[27:28], off offset:944
	s_waitcnt lgkmcnt(0)
	v_add_f64 v[29:30], v[0:1], v[6:7]
	v_add_f64 v[31:32], v[8:9], v[2:3]
	v_add_f64 v[33:34], v[0:1], -v[6:7]
	v_add_f64 v[0:1], v[2:3], -v[8:9]
	s_waitcnt vmcnt(3)
	v_fma_f64 v[2:3], v[33:34], v[12:13], v[29:30]
	v_fma_f64 v[6:7], v[31:32], v[12:13], v[0:1]
	v_fma_f64 v[8:9], -v[33:34], v[12:13], v[29:30]
	v_fma_f64 v[12:13], v[31:32], v[12:13], -v[0:1]
	v_fma_f64 v[0:1], -v[31:32], v[10:11], v[2:3]
	v_fma_f64 v[2:3], v[33:34], v[10:11], v[6:7]
	v_fma_f64 v[6:7], v[31:32], v[10:11], v[8:9]
	v_fma_f64 v[8:9], v[33:34], v[10:11], v[12:13]
	ds_write_b128 v192, v[0:3] offset:2016
	ds_write_b128 v14, v[6:9] offset:22176
	ds_read_b128 v[0:3], v192 offset:3024
	ds_read_b128 v[6:9], v14 offset:21168
	global_load_dwordx4 v[10:13], v[27:28], off offset:1952
	s_waitcnt lgkmcnt(0)
	v_add_f64 v[27:28], v[0:1], v[6:7]
	v_add_f64 v[29:30], v[8:9], v[2:3]
	v_add_f64 v[31:32], v[0:1], -v[6:7]
	v_add_f64 v[0:1], v[2:3], -v[8:9]
	s_waitcnt vmcnt(3)
	v_fma_f64 v[2:3], v[31:32], v[17:18], v[27:28]
	v_fma_f64 v[6:7], v[29:30], v[17:18], v[0:1]
	v_fma_f64 v[8:9], -v[31:32], v[17:18], v[27:28]
	v_fma_f64 v[17:18], v[29:30], v[17:18], -v[0:1]
	v_add_co_u32 v27, s0, 0x1800, v4
	v_add_co_ci_u32_e64 v28, s0, 0, v5, s0
	v_fma_f64 v[0:1], -v[29:30], v[15:16], v[2:3]
	v_fma_f64 v[2:3], v[31:32], v[15:16], v[6:7]
	v_fma_f64 v[6:7], v[29:30], v[15:16], v[8:9]
	;; [unrolled: 1-line block ×3, first 2 shown]
	ds_write_b128 v192, v[0:3] offset:3024
	ds_write_b128 v14, v[6:9] offset:21168
	ds_read_b128 v[0:3], v192 offset:4032
	ds_read_b128 v[6:9], v14 offset:20160
	global_load_dwordx4 v[15:18], v[27:28], off offset:912
	s_waitcnt lgkmcnt(0)
	v_add_f64 v[29:30], v[0:1], v[6:7]
	v_add_f64 v[31:32], v[8:9], v[2:3]
	v_add_f64 v[33:34], v[0:1], -v[6:7]
	v_add_f64 v[0:1], v[2:3], -v[8:9]
	s_waitcnt vmcnt(3)
	v_fma_f64 v[2:3], v[33:34], v[25:26], v[29:30]
	v_fma_f64 v[6:7], v[31:32], v[25:26], v[0:1]
	v_fma_f64 v[8:9], -v[33:34], v[25:26], v[29:30]
	v_fma_f64 v[25:26], v[31:32], v[25:26], -v[0:1]
	v_fma_f64 v[0:1], -v[31:32], v[23:24], v[2:3]
	v_fma_f64 v[2:3], v[33:34], v[23:24], v[6:7]
	v_fma_f64 v[6:7], v[31:32], v[23:24], v[8:9]
	;; [unrolled: 1-line block ×3, first 2 shown]
	ds_write_b128 v192, v[0:3] offset:4032
	ds_write_b128 v14, v[6:9] offset:20160
	ds_read_b128 v[0:3], v192 offset:5040
	ds_read_b128 v[6:9], v14 offset:19152
	global_load_dwordx4 v[23:26], v[27:28], off offset:1920
	s_waitcnt lgkmcnt(0)
	v_add_f64 v[27:28], v[0:1], v[6:7]
	v_add_f64 v[29:30], v[8:9], v[2:3]
	v_add_f64 v[31:32], v[0:1], -v[6:7]
	v_add_f64 v[0:1], v[2:3], -v[8:9]
	s_waitcnt vmcnt(3)
	v_fma_f64 v[2:3], v[31:32], v[21:22], v[27:28]
	v_fma_f64 v[6:7], v[29:30], v[21:22], v[0:1]
	v_fma_f64 v[8:9], -v[31:32], v[21:22], v[27:28]
	v_fma_f64 v[21:22], v[29:30], v[21:22], -v[0:1]
	v_add_co_u32 v27, s0, 0x2000, v4
	v_add_co_ci_u32_e64 v28, s0, 0, v5, s0
	v_fma_f64 v[0:1], -v[29:30], v[19:20], v[2:3]
	v_fma_f64 v[2:3], v[31:32], v[19:20], v[6:7]
	v_fma_f64 v[6:7], v[29:30], v[19:20], v[8:9]
	;; [unrolled: 1-line block ×3, first 2 shown]
	ds_write_b128 v192, v[0:3] offset:5040
	ds_write_b128 v14, v[6:9] offset:19152
	ds_read_b128 v[0:3], v192 offset:6048
	ds_read_b128 v[6:9], v14 offset:18144
	global_load_dwordx4 v[19:22], v[27:28], off offset:880
	s_waitcnt lgkmcnt(0)
	v_add_f64 v[29:30], v[0:1], v[6:7]
	v_add_f64 v[31:32], v[8:9], v[2:3]
	v_add_f64 v[33:34], v[0:1], -v[6:7]
	v_add_f64 v[0:1], v[2:3], -v[8:9]
	s_waitcnt vmcnt(3)
	v_fma_f64 v[2:3], v[33:34], v[12:13], v[29:30]
	v_fma_f64 v[6:7], v[31:32], v[12:13], v[0:1]
	v_fma_f64 v[8:9], -v[33:34], v[12:13], v[29:30]
	v_fma_f64 v[12:13], v[31:32], v[12:13], -v[0:1]
	v_fma_f64 v[0:1], -v[31:32], v[10:11], v[2:3]
	v_fma_f64 v[2:3], v[33:34], v[10:11], v[6:7]
	v_fma_f64 v[6:7], v[31:32], v[10:11], v[8:9]
	;; [unrolled: 1-line block ×3, first 2 shown]
	v_and_b32_e32 v33, 1, v66
	ds_write_b128 v192, v[0:3] offset:6048
	ds_write_b128 v14, v[6:9] offset:18144
	ds_read_b128 v[0:3], v192 offset:7056
	ds_read_b128 v[6:9], v14 offset:17136
	global_load_dwordx4 v[10:13], v[27:28], off offset:1888
	s_waitcnt lgkmcnt(0)
	v_add_f64 v[27:28], v[0:1], v[6:7]
	v_add_f64 v[29:30], v[8:9], v[2:3]
	v_add_f64 v[31:32], v[0:1], -v[6:7]
	v_add_f64 v[0:1], v[2:3], -v[8:9]
	s_waitcnt vmcnt(3)
	v_fma_f64 v[2:3], v[31:32], v[17:18], v[27:28]
	v_fma_f64 v[6:7], v[29:30], v[17:18], v[0:1]
	v_fma_f64 v[8:9], -v[31:32], v[17:18], v[27:28]
	v_fma_f64 v[17:18], v[29:30], v[17:18], -v[0:1]
	v_add_co_u32 v27, s0, 0x2800, v4
	v_add_co_ci_u32_e64 v28, s0, 0, v5, s0
	v_cmp_gt_u32_e64 s0, 9, v186
	v_fma_f64 v[0:1], -v[29:30], v[15:16], v[2:3]
	v_fma_f64 v[2:3], v[31:32], v[15:16], v[6:7]
	v_fma_f64 v[6:7], v[29:30], v[15:16], v[8:9]
	;; [unrolled: 1-line block ×3, first 2 shown]
	v_and_b32_e32 v32, 1, v187
	v_add_nc_u32_e32 v31, 0x1f8, v186
	ds_write_b128 v192, v[0:3] offset:7056
	ds_write_b128 v14, v[6:9] offset:17136
	ds_read_b128 v[4:7], v192 offset:8064
	ds_read_b128 v[15:18], v14 offset:16128
	global_load_dwordx4 v[0:3], v[27:28], off offset:848
	v_lshlrev_b32_e32 v121, 4, v32
	v_lshl_add_u32 v117, v31, 5, 0
	s_waitcnt lgkmcnt(0)
	v_add_f64 v[8:9], v[4:5], v[15:16]
	v_add_f64 v[27:28], v[17:18], v[6:7]
	v_add_f64 v[29:30], v[4:5], -v[15:16]
	v_add_f64 v[4:5], v[6:7], -v[17:18]
	s_waitcnt vmcnt(3)
	v_fma_f64 v[6:7], v[29:30], v[25:26], v[8:9]
	v_fma_f64 v[15:16], v[27:28], v[25:26], v[4:5]
	v_fma_f64 v[8:9], -v[29:30], v[25:26], v[8:9]
	v_fma_f64 v[17:18], v[27:28], v[25:26], -v[4:5]
	v_fma_f64 v[4:5], -v[27:28], v[23:24], v[6:7]
	v_fma_f64 v[6:7], v[29:30], v[23:24], v[15:16]
	v_fma_f64 v[15:16], v[27:28], v[23:24], v[8:9]
	;; [unrolled: 1-line block ×3, first 2 shown]
	v_add_nc_u32_e32 v30, 0x237, v186
	v_add_nc_u32_e32 v29, 0x276, v186
	;; [unrolled: 1-line block ×3, first 2 shown]
	ds_write_b128 v192, v[4:7] offset:8064
	ds_write_b128 v14, v[15:18] offset:16128
	ds_read_b128 v[4:7], v192 offset:9072
	ds_read_b128 v[15:18], v14 offset:15120
	v_lshl_add_u32 v118, v30, 5, 0
	v_lshl_add_u32 v119, v29, 5, 0
	v_lshl_add_u32 v120, v28, 5, 0
	s_waitcnt lgkmcnt(0)
	v_add_f64 v[8:9], v[4:5], v[15:16]
	v_add_f64 v[23:24], v[17:18], v[6:7]
	v_add_f64 v[25:26], v[4:5], -v[15:16]
	v_add_f64 v[4:5], v[6:7], -v[17:18]
	s_waitcnt vmcnt(2)
	v_fma_f64 v[6:7], v[25:26], v[21:22], v[8:9]
	v_fma_f64 v[15:16], v[23:24], v[21:22], v[4:5]
	v_fma_f64 v[8:9], -v[25:26], v[21:22], v[8:9]
	v_fma_f64 v[17:18], v[23:24], v[21:22], -v[4:5]
	v_fma_f64 v[4:5], -v[23:24], v[19:20], v[6:7]
	v_fma_f64 v[6:7], v[25:26], v[19:20], v[15:16]
	v_fma_f64 v[15:16], v[23:24], v[19:20], v[8:9]
	;; [unrolled: 1-line block ×3, first 2 shown]
	ds_write_b128 v192, v[4:7] offset:9072
	ds_write_b128 v14, v[15:18] offset:15120
	ds_read_b128 v[4:7], v192 offset:10080
	ds_read_b128 v[15:18], v14 offset:14112
	s_waitcnt lgkmcnt(0)
	v_add_f64 v[8:9], v[4:5], v[15:16]
	v_add_f64 v[19:20], v[17:18], v[6:7]
	v_add_f64 v[15:16], v[4:5], -v[15:16]
	v_add_f64 v[4:5], v[6:7], -v[17:18]
	s_waitcnt vmcnt(1)
	v_fma_f64 v[6:7], v[15:16], v[12:13], v[8:9]
	v_fma_f64 v[17:18], v[19:20], v[12:13], v[4:5]
	v_fma_f64 v[8:9], -v[15:16], v[12:13], v[8:9]
	v_fma_f64 v[12:13], v[19:20], v[12:13], -v[4:5]
	v_fma_f64 v[4:5], -v[19:20], v[10:11], v[6:7]
	v_fma_f64 v[6:7], v[15:16], v[10:11], v[17:18]
	v_fma_f64 v[8:9], v[19:20], v[10:11], v[8:9]
	;; [unrolled: 1-line block ×3, first 2 shown]
	ds_write_b128 v192, v[4:7] offset:10080
	ds_write_b128 v14, v[8:11] offset:14112
	ds_read_b128 v[6:9], v192 offset:11088
	ds_read_b128 v[10:13], v14 offset:13104
	s_waitcnt lgkmcnt(0)
	v_add_f64 v[15:16], v[6:7], v[10:11]
	v_add_f64 v[4:5], v[12:13], v[8:9]
	v_add_f64 v[6:7], v[6:7], -v[10:11]
	v_add_f64 v[17:18], v[8:9], -v[12:13]
	s_waitcnt vmcnt(0)
	v_fma_f64 v[8:9], v[6:7], v[2:3], v[15:16]
	v_fma_f64 v[10:11], v[4:5], v[2:3], v[17:18]
	v_fma_f64 v[12:13], -v[6:7], v[2:3], v[15:16]
	v_fma_f64 v[2:3], v[4:5], v[2:3], -v[17:18]
	v_lshl_add_u32 v15, v186, 5, 0
	v_fma_f64 v[8:9], -v[4:5], v[0:1], v[8:9]
	v_fma_f64 v[10:11], v[6:7], v[0:1], v[10:11]
	v_fma_f64 v[4:5], v[4:5], v[0:1], v[12:13]
	v_fma_f64 v[6:7], v[6:7], v[0:1], v[2:3]
	v_lshl_add_u32 v12, v69, 5, 0
	v_lshl_add_u32 v13, v64, 5, 0
	ds_write_b128 v192, v[8:11] offset:11088
	ds_write_b128 v14, v[4:7] offset:13104
	s_waitcnt lgkmcnt(0)
	s_barrier
	buffer_gl0_inv
	s_barrier
	buffer_gl0_inv
	ds_read_b128 v[0:3], v192
	ds_read_b128 v[4:7], v192 offset:1008
	ds_read_b128 v[8:11], v192 offset:12096
	;; [unrolled: 1-line block ×23, first 2 shown]
	s_waitcnt lgkmcnt(21)
	v_add_f64 v[8:9], v[0:1], -v[8:9]
	v_add_f64 v[10:11], v[2:3], -v[10:11]
	s_waitcnt lgkmcnt(20)
	v_add_f64 v[16:17], v[4:5], -v[16:17]
	v_add_f64 v[18:19], v[6:7], -v[18:19]
	;; [unrolled: 3-line block ×12, first 2 shown]
	v_fma_f64 v[0:1], v[0:1], 2.0, -v[8:9]
	v_fma_f64 v[2:3], v[2:3], 2.0, -v[10:11]
	;; [unrolled: 1-line block ×4, first 2 shown]
	s_barrier
	buffer_gl0_inv
	ds_write_b128 v15, v[8:11] offset:16
	v_fma_f64 v[8:9], v[20:21], 2.0, -v[34:35]
	v_fma_f64 v[10:11], v[22:23], 2.0, -v[36:37]
	ds_write_b128 v12, v[16:19] offset:16
	v_fma_f64 v[16:17], v[24:25], 2.0, -v[38:39]
	v_fma_f64 v[18:19], v[26:27], 2.0, -v[40:41]
	;; [unrolled: 1-line block ×18, first 2 shown]
	ds_write_b128 v13, v[34:37] offset:16
	ds_write_b128 v62, v[38:41] offset:16
	;; [unrolled: 1-line block ×10, first 2 shown]
	ds_write_b128 v15, v[0:3]
	ds_write_b128 v12, v[4:7]
	;; [unrolled: 1-line block ×12, first 2 shown]
	s_waitcnt lgkmcnt(0)
	s_barrier
	buffer_gl0_inv
	global_load_dwordx4 v[0:3], v121, s[12:13]
	v_lshlrev_b32_e32 v4, 4, v33
	v_and_b32_e32 v34, 1, v68
	v_and_b32_e32 v35, 1, v186
	v_and_b32_e32 v36, 1, v28
	v_and_b32_e32 v37, 1, v30
	global_load_dwordx4 v[20:23], v4, s[12:13]
	v_lshlrev_b32_e32 v4, 4, v34
	v_lshlrev_b32_e32 v5, 4, v35
	;; [unrolled: 1-line block ×4, first 2 shown]
	v_and_b32_e32 v38, 1, v69
	s_clause 0x3
	global_load_dwordx4 v[12:15], v4, s[12:13]
	global_load_dwordx4 v[4:7], v5, s[12:13]
	;; [unrolled: 1-line block ×4, first 2 shown]
	v_lshlrev_b32_e32 v41, 1, v69
	v_lshlrev_b32_e32 v43, 1, v187
	;; [unrolled: 1-line block ×3, first 2 shown]
	s_clause 0x1
	global_load_dwordx2 v[26:27], v24, s[12:13] offset:8
	global_load_dwordx2 v[24:25], v25, s[12:13]
	v_lshlrev_b32_e32 v45, 1, v66
	v_lshlrev_b32_e32 v47, 1, v68
	;; [unrolled: 1-line block ×3, first 2 shown]
	v_and_or_b32 v31, 0xfc, v41, v38
	v_and_or_b32 v32, 0x1fc, v43, v32
	;; [unrolled: 1-line block ×3, first 2 shown]
	v_lshlrev_b32_e32 v42, 1, v64
	v_lshlrev_b32_e32 v44, 1, v65
	;; [unrolled: 1-line block ×5, first 2 shown]
	v_and_or_b32 v56, 0x3fc, v47, v34
	v_lshl_add_u32 v171, v31, 4, 0
	v_lshl_add_u32 v173, v32, 4, 0
	;; [unrolled: 1-line block ×3, first 2 shown]
	ds_read_b128 v[31:34], v192 offset:15120
	v_and_or_b32 v39, 0x7c, v190, v35
	v_lshlrev_b32_e32 v51, 1, v28
	v_and_or_b32 v38, 0x1fc, v42, v35
	v_and_or_b32 v54, 0x3fc, v44, v35
	;; [unrolled: 1-line block ×7, first 2 shown]
	v_lshl_add_u32 v172, v38, 4, 0
	v_lshl_add_u32 v174, v54, 4, 0
	;; [unrolled: 1-line block ×4, first 2 shown]
	ds_read_b128 v[35:38], v192 offset:17136
	v_lshl_add_u32 v176, v55, 4, 0
	v_lshl_add_u32 v177, v56, 4, 0
	;; [unrolled: 1-line block ×4, first 2 shown]
	ds_read_b128 v[54:57], v192 offset:14112
	ds_read_b128 v[58:61], v192 offset:12096
	;; [unrolled: 1-line block ×10, first 2 shown]
	ds_read_b128 v[102:105], v192
	ds_read_b128 v[106:109], v192 offset:1008
	ds_read_b128 v[110:113], v192 offset:2016
	;; [unrolled: 1-line block ×9, first 2 shown]
	v_lshl_add_u32 v39, v39, 4, 0
	v_and_b32_e32 v52, 3, v66
	v_and_b32_e32 v40, 3, v186
	;; [unrolled: 1-line block ×3, first 2 shown]
	v_lshlrev_b32_e32 v170, 4, v52
	v_and_or_b32 v44, 0x3f8, v44, v40
	v_and_or_b32 v48, 0x7f8, v48, v40
	;; [unrolled: 1-line block ×4, first 2 shown]
	s_waitcnt vmcnt(7) lgkmcnt(21)
	v_mul_f64 v[62:63], v[33:34], v[2:3]
	v_mul_f64 v[2:3], v[31:32], v[2:3]
	s_waitcnt vmcnt(6) lgkmcnt(20)
	v_mul_f64 v[142:143], v[37:38], v[22:23]
	v_mul_f64 v[22:23], v[35:36], v[22:23]
	s_waitcnt vmcnt(4) lgkmcnt(18)
	v_mul_f64 v[146:147], v[60:61], v[6:7]
	v_mul_f64 v[148:149], v[58:59], v[6:7]
	s_waitcnt vmcnt(3) lgkmcnt(17)
	v_mul_f64 v[150:151], v[72:73], v[10:11]
	v_mul_f64 v[10:11], v[70:71], v[10:11]
	v_mul_f64 v[156:157], v[56:57], v[6:7]
	v_mul_f64 v[158:159], v[54:55], v[6:7]
	s_waitcnt lgkmcnt(16)
	v_mul_f64 v[160:161], v[76:77], v[6:7]
	s_waitcnt lgkmcnt(15)
	;; [unrolled: 2-line block ×3, first 2 shown]
	v_mul_f64 v[162:163], v[84:85], v[6:7]
	v_mul_f64 v[164:165], v[82:83], v[6:7]
	;; [unrolled: 1-line block ×3, first 2 shown]
	v_fma_f64 v[31:32], v[31:32], v[0:1], -v[62:63]
	v_mul_f64 v[62:63], v[74:75], v[6:7]
	s_waitcnt lgkmcnt(12)
	v_mul_f64 v[166:167], v[92:93], v[6:7]
	s_waitcnt vmcnt(2)
	v_mul_f64 v[152:153], v[88:89], v[18:19]
	v_mul_f64 v[154:155], v[86:87], v[18:19]
	s_waitcnt vmcnt(1) lgkmcnt(10)
	v_mul_f64 v[168:169], v[100:101], v[26:27]
	v_fma_f64 v[35:36], v[35:36], v[20:21], -v[142:143]
	v_fma_f64 v[37:38], v[37:38], v[20:21], v[22:23]
	v_mul_f64 v[22:23], v[90:91], v[6:7]
	v_mul_f64 v[142:143], v[96:97], v[6:7]
	;; [unrolled: 1-line block ×4, first 2 shown]
	v_fma_f64 v[58:59], v[58:59], v[4:5], -v[146:147]
	v_fma_f64 v[60:61], v[60:61], v[4:5], v[148:149]
	s_waitcnt vmcnt(0)
	v_fma_f64 v[70:71], v[70:71], v[24:25], -v[150:151]
	v_fma_f64 v[10:11], v[72:73], v[24:25], v[10:11]
	v_fma_f64 v[24:25], v[54:55], v[4:5], -v[156:157]
	v_fma_f64 v[54:55], v[56:57], v[4:5], v[158:159]
	v_fma_f64 v[33:34], v[33:34], v[0:1], v[2:3]
	v_fma_f64 v[56:57], v[74:75], v[4:5], -v[160:161]
	v_fma_f64 v[72:73], v[78:79], v[12:13], -v[144:145]
	v_fma_f64 v[78:79], v[84:85], v[4:5], v[164:165]
	v_fma_f64 v[74:75], v[80:81], v[12:13], v[14:15]
	;; [unrolled: 1-line block ×3, first 2 shown]
	v_fma_f64 v[76:77], v[82:83], v[4:5], -v[162:163]
	v_fma_f64 v[82:83], v[90:91], v[4:5], -v[166:167]
	;; [unrolled: 1-line block ×3, first 2 shown]
	v_fma_f64 v[16:17], v[88:89], v[16:17], v[154:155]
	v_fma_f64 v[90:91], v[98:99], v[8:9], -v[168:169]
	ds_read_b128 v[0:3], v192 offset:10080
	ds_read_b128 v[18:21], v192 offset:11088
	v_fma_f64 v[84:85], v[92:93], v[4:5], v[22:23]
	v_fma_f64 v[86:87], v[94:95], v[4:5], -v[142:143]
	v_fma_f64 v[88:89], v[96:97], v[4:5], v[6:7]
	v_fma_f64 v[26:27], v[100:101], v[8:9], v[26:27]
	s_waitcnt lgkmcnt(11)
	v_add_f64 v[4:5], v[102:103], -v[58:59]
	v_add_f64 v[6:7], v[104:105], -v[60:61]
	s_waitcnt lgkmcnt(10)
	v_add_f64 v[8:9], v[106:107], -v[70:71]
	v_add_f64 v[10:11], v[108:109], -v[10:11]
	;; [unrolled: 3-line block ×4, first 2 shown]
	s_waitcnt lgkmcnt(7)
	v_add_f64 v[31:32], v[118:119], -v[56:57]
	s_waitcnt lgkmcnt(6)
	v_add_f64 v[35:36], v[122:123], -v[35:36]
	v_add_f64 v[37:38], v[124:125], -v[37:38]
	;; [unrolled: 1-line block ×3, first 2 shown]
	s_waitcnt lgkmcnt(5)
	v_add_f64 v[54:55], v[126:127], -v[76:77]
	v_add_f64 v[56:57], v[128:129], -v[78:79]
	s_waitcnt lgkmcnt(4)
	v_add_f64 v[58:59], v[130:131], -v[72:73]
	v_add_f64 v[60:61], v[132:133], -v[74:75]
	s_waitcnt lgkmcnt(3)
	v_add_f64 v[70:71], v[134:135], -v[82:83]
	s_waitcnt lgkmcnt(2)
	v_add_f64 v[74:75], v[138:139], -v[80:81]
	v_add_f64 v[72:73], v[136:137], -v[84:85]
	;; [unrolled: 1-line block ×3, first 2 shown]
	s_waitcnt lgkmcnt(1)
	v_add_f64 v[78:79], v[0:1], -v[86:87]
	v_add_f64 v[80:81], v[2:3], -v[88:89]
	s_waitcnt lgkmcnt(0)
	v_add_f64 v[82:83], v[18:19], -v[90:91]
	v_add_f64 v[84:85], v[20:21], -v[26:27]
	v_fma_f64 v[86:87], v[102:103], 2.0, -v[4:5]
	v_fma_f64 v[88:89], v[104:105], 2.0, -v[6:7]
	s_barrier
	buffer_gl0_inv
	ds_write_b128 v39, v[4:7] offset:32
	v_fma_f64 v[4:5], v[106:107], 2.0, -v[8:9]
	v_fma_f64 v[6:7], v[108:109], 2.0, -v[10:11]
	;; [unrolled: 1-line block ×22, first 2 shown]
	ds_write_b128 v39, v[86:89]
	ds_write_b128 v171, v[4:7]
	ds_write_b128 v171, v[8:11] offset:32
	ds_write_b128 v172, v[90:93]
	ds_write_b128 v172, v[12:15] offset:32
	;; [unrolled: 2-line block ×11, first 2 shown]
	v_and_b32_e32 v55, 3, v30
	s_waitcnt lgkmcnt(0)
	s_barrier
	buffer_gl0_inv
	global_load_dwordx4 v[0:3], v170, s[12:13] offset:32
	v_and_b32_e32 v54, 3, v68
	v_lshlrev_b32_e32 v4, 4, v40
	v_and_b32_e32 v56, 3, v29
	v_and_b32_e32 v57, 3, v28
	v_lshlrev_b32_e32 v8, 4, v53
	v_lshlrev_b32_e32 v28, 4, v55
	global_load_dwordx4 v[4:7], v4, s[12:13] offset:32
	v_lshlrev_b32_e32 v12, 4, v54
	v_lshlrev_b32_e32 v29, 4, v56
	;; [unrolled: 1-line block ×3, first 2 shown]
	s_clause 0x1
	global_load_dwordx4 v[20:23], v8, s[12:13] offset:32
	global_load_dwordx4 v[8:11], v28, s[12:13] offset:32
	v_and_b32_e32 v58, 3, v69
	s_clause 0x4
	global_load_dwordx4 v[24:27], v12, s[12:13] offset:32
	global_load_dwordx4 v[12:15], v29, s[12:13] offset:32
	global_load_dwordx4 v[16:19], v30, s[12:13] offset:32
	global_load_dwordx2 v[36:37], v28, s[12:13] offset:40
	global_load_dwordx2 v[34:35], v29, s[12:13] offset:40
	v_and_b32_e32 v59, 3, v64
	v_lshlrev_b32_e32 v28, 4, v58
	v_and_b32_e32 v60, 3, v187
	global_load_dwordx2 v[32:33], v30, s[12:13] offset:40
	v_and_or_b32 v41, 0xf8, v41, v58
	v_and_or_b32 v42, 0x1f8, v42, v59
	global_load_dwordx2 v[38:39], v28, s[12:13] offset:32
	v_lshlrev_b32_e32 v28, 4, v59
	v_lshlrev_b32_e32 v29, 4, v60
	s_clause 0x1
	global_load_dwordx2 v[30:31], v28, s[12:13] offset:32
	global_load_dwordx2 v[28:29], v29, s[12:13] offset:32
	v_and_or_b32 v43, 0x1f8, v43, v60
	v_and_or_b32 v61, 0x78, v190, v40
	v_lshl_add_u32 v164, v41, 4, 0
	v_lshl_add_u32 v165, v42, 4, 0
	v_and_or_b32 v47, 0x3f8, v47, v54
	v_lshl_add_u32 v166, v43, 4, 0
	ds_read_b128 v[40:43], v192 offset:17136
	v_and_or_b32 v49, 0x4f8, v49, v55
	v_and_or_b32 v50, 0x5f8, v50, v56
	;; [unrolled: 1-line block ×3, first 2 shown]
	v_lshl_add_u32 v163, v61, 4, 0
	v_lshl_add_u32 v167, v44, 4, 0
	;; [unrolled: 1-line block ×9, first 2 shown]
	ds_read_b128 v[44:47], v192 offset:18144
	ds_read_b128 v[48:51], v192 offset:19152
	;; [unrolled: 1-line block ×11, first 2 shown]
	ds_read_b128 v[99:102], v192
	ds_read_b128 v[103:106], v192 offset:1008
	ds_read_b128 v[107:110], v192 offset:2016
	;; [unrolled: 1-line block ×9, first 2 shown]
	v_and_b32_e32 v73, 7, v186
	v_and_b32_e32 v74, 7, v69
	v_lshlrev_b32_e32 v72, 5, v73
	s_waitcnt vmcnt(12) lgkmcnt(21)
	v_mul_f64 v[70:71], v[42:43], v[2:3]
	v_mul_f64 v[2:3], v[40:41], v[2:3]
	s_waitcnt vmcnt(11) lgkmcnt(18)
	v_mul_f64 v[139:140], v[54:55], v[6:7]
	v_mul_f64 v[141:142], v[52:53], v[6:7]
	s_waitcnt lgkmcnt(16)
	v_mul_f64 v[149:150], v[62:63], v[6:7]
	v_mul_f64 v[151:152], v[60:61], v[6:7]
	s_waitcnt vmcnt(9)
	v_mul_f64 v[145:146], v[58:59], v[10:11]
	v_mul_f64 v[10:11], v[56:57], v[10:11]
	s_waitcnt vmcnt(7) lgkmcnt(11)
	v_mul_f64 v[153:154], v[93:94], v[14:15]
	v_mul_f64 v[14:15], v[91:92], v[14:15]
	s_waitcnt vmcnt(6) lgkmcnt(10)
	v_mul_f64 v[155:156], v[97:98], v[18:19]
	v_mul_f64 v[18:19], v[95:96], v[18:19]
	;; [unrolled: 1-line block ×6, first 2 shown]
	s_waitcnt vmcnt(5)
	v_mul_f64 v[157:158], v[81:82], v[36:37]
	v_fma_f64 v[40:41], v[40:41], v[0:1], -v[70:71]
	v_mul_f64 v[70:71], v[77:78], v[6:7]
	v_mul_f64 v[6:7], v[75:76], v[6:7]
	;; [unrolled: 1-line block ×3, first 2 shown]
	s_waitcnt vmcnt(4)
	v_mul_f64 v[159:160], v[85:86], v[34:35]
	v_mul_f64 v[161:162], v[83:84], v[34:35]
	v_fma_f64 v[42:43], v[42:43], v[0:1], v[2:3]
	v_fma_f64 v[52:53], v[52:53], v[4:5], -v[139:140]
	v_fma_f64 v[54:55], v[54:55], v[4:5], v[141:142]
	s_waitcnt vmcnt(3)
	v_mul_f64 v[139:140], v[89:90], v[32:33]
	v_mul_f64 v[141:142], v[87:88], v[32:33]
	s_waitcnt vmcnt(2)
	v_fma_f64 v[56:57], v[56:57], v[38:39], -v[145:146]
	v_fma_f64 v[10:11], v[58:59], v[38:39], v[10:11]
	s_waitcnt vmcnt(1)
	v_fma_f64 v[38:39], v[91:92], v[30:31], -v[153:154]
	v_fma_f64 v[14:15], v[93:94], v[30:31], v[14:15]
	;; [unrolled: 3-line block ×3, first 2 shown]
	v_fma_f64 v[28:29], v[60:61], v[4:5], -v[149:150]
	v_fma_f64 v[58:59], v[62:63], v[4:5], v[151:152]
	v_fma_f64 v[44:45], v[44:45], v[20:21], -v[143:144]
	v_fma_f64 v[46:47], v[46:47], v[20:21], v[22:23]
	;; [unrolled: 2-line block ×6, first 2 shown]
	ds_read_b128 v[0:3], v192 offset:10080
	ds_read_b128 v[32:35], v192 offset:11088
	s_waitcnt lgkmcnt(11)
	v_add_f64 v[4:5], v[99:100], -v[52:53]
	v_fma_f64 v[81:82], v[87:88], v[16:17], -v[139:140]
	v_fma_f64 v[83:84], v[89:90], v[16:17], v[141:142]
	v_add_f64 v[6:7], v[101:102], -v[54:55]
	s_waitcnt lgkmcnt(10)
	v_add_f64 v[8:9], v[103:104], -v[56:57]
	v_add_f64 v[10:11], v[105:106], -v[10:11]
	s_waitcnt lgkmcnt(9)
	v_add_f64 v[12:13], v[107:108], -v[38:39]
	;; [unrolled: 3-line block ×11, first 2 shown]
	v_add_f64 v[54:55], v[34:35], -v[83:84]
	v_fma_f64 v[56:57], v[99:100], 2.0, -v[4:5]
	v_fma_f64 v[58:59], v[101:102], 2.0, -v[6:7]
	s_barrier
	buffer_gl0_inv
	ds_write_b128 v163, v[4:7] offset:64
	v_fma_f64 v[4:5], v[103:104], 2.0, -v[8:9]
	v_fma_f64 v[6:7], v[105:106], 2.0, -v[10:11]
	;; [unrolled: 1-line block ×22, first 2 shown]
	ds_write_b128 v163, v[56:59]
	ds_write_b128 v164, v[4:7]
	ds_write_b128 v164, v[8:11] offset:64
	ds_write_b128 v165, v[60:63]
	ds_write_b128 v165, v[12:15] offset:64
	ds_write_b128 v166, v[75:78]
	ds_write_b128 v166, v[16:19] offset:64
	ds_write_b128 v167, v[79:82]
	ds_write_b128 v167, v[20:23] offset:64
	ds_write_b128 v168, v[83:86]
	ds_write_b128 v168, v[24:27] offset:64
	ds_write_b128 v169, v[87:90]
	ds_write_b128 v169, v[28:31] offset:64
	ds_write_b128 v170, v[91:94]
	ds_write_b128 v170, v[36:39] offset:64
	ds_write_b128 v171, v[95:98]
	ds_write_b128 v171, v[40:43] offset:64
	ds_write_b128 v172, v[99:102]
	ds_write_b128 v172, v[44:47] offset:64
	ds_write_b128 v173, v[0:3]
	ds_write_b128 v173, v[48:51] offset:64
	ds_write_b128 v174, v[32:35]
	ds_write_b128 v174, v[52:55] offset:64
	s_waitcnt lgkmcnt(0)
	s_barrier
	buffer_gl0_inv
	s_clause 0x1
	global_load_dwordx4 v[4:7], v72, s[12:13] offset:96
	global_load_dwordx4 v[0:3], v72, s[12:13] offset:112
	v_lshlrev_b32_e32 v8, 5, v74
	v_and_b32_e32 v75, 7, v64
	v_and_b32_e32 v76, 7, v187
	;; [unrolled: 1-line block ×4, first 2 shown]
	global_load_dwordx4 v[12:15], v8, s[12:13] offset:96
	v_lshlrev_b32_e32 v20, 5, v75
	v_lshlrev_b32_e32 v24, 5, v76
	;; [unrolled: 1-line block ×3, first 2 shown]
	v_and_b32_e32 v79, 7, v67
	v_lshlrev_b32_e32 v40, 5, v78
	s_clause 0x6
	global_load_dwordx4 v[16:19], v20, s[12:13] offset:96
	global_load_dwordx4 v[8:11], v8, s[12:13] offset:112
	;; [unrolled: 1-line block ×7, first 2 shown]
	v_and_b32_e32 v80, 7, v68
	v_lshlrev_b32_e32 v41, 5, v79
	s_clause 0x2
	global_load_dwordx4 v[52:55], v40, s[12:13] offset:96
	global_load_dwordx4 v[48:51], v40, s[12:13] offset:112
	;; [unrolled: 1-line block ×3, first 2 shown]
	v_lshlrev_b32_e32 v60, 5, v80
	s_clause 0x2
	global_load_dwordx4 v[40:43], v41, s[12:13] offset:112
	global_load_dwordx4 v[56:59], v60, s[12:13] offset:96
	global_load_dwordx4 v[60:63], v60, s[12:13] offset:112
	v_lshrrev_b32_e32 v71, 3, v186
	v_and_b32_e32 v72, 0xff, v186
	v_lshrrev_b32_e32 v82, 3, v69
	v_lshrrev_b32_e32 v83, 3, v64
	;; [unrolled: 1-line block ×3, first 2 shown]
	v_mul_u32_u24_e32 v81, 24, v71
	v_lshrrev_b32_e32 v85, 3, v65
	v_lshrrev_b32_e32 v86, 3, v66
	v_mul_lo_u16 v87, 0xab, v72
	v_lshrrev_b32_e32 v88, 3, v67
	v_lshrrev_b32_e32 v89, 3, v68
	v_or_b32_e32 v81, v81, v73
	v_mul_u32_u24_e32 v82, 24, v82
	v_mul_u32_u24_e32 v83, 24, v83
	;; [unrolled: 1-line block ×5, first 2 shown]
	v_lshrrev_b16 v73, 12, v87
	v_mul_u32_u24_e32 v87, 24, v88
	v_mul_u32_u24_e32 v88, 24, v89
	v_lshl_add_u32 v183, v81, 4, 0
	v_or_b32_e32 v91, v82, v74
	v_or_b32_e32 v92, v83, v75
	;; [unrolled: 1-line block ×3, first 2 shown]
	ds_read_b128 v[81:84], v192 offset:8064
	v_and_b32_e32 v90, 0xff, v69
	v_and_b32_e32 v71, 0xff, v64
	v_or_b32_e32 v77, v85, v77
	v_or_b32_e32 v78, v86, v78
	;; [unrolled: 1-line block ×4, first 2 shown]
	ds_read_b128 v[85:88], v192 offset:16128
	v_mul_lo_u16 v89, 0xab, v90
	v_mul_lo_u16 v90, 0xab, v71
	v_lshl_add_u32 v191, v91, 4, 0
	v_lshl_add_u32 v195, v92, 4, 0
	v_mul_lo_u16 v93, v73, 24
	v_lshrrev_b16 v74, 12, v89
	v_lshrrev_b16 v75, 12, v90
	ds_read_b128 v[89:92], v192 offset:9072
	v_lshl_add_u32 v198, v78, 4, 0
	v_lshl_add_u32 v199, v79, 4, 0
	;; [unrolled: 1-line block ×3, first 2 shown]
	v_sub_nc_u16 v76, v186, v93
	ds_read_b128 v[93:96], v192 offset:17136
	ds_read_b128 v[97:100], v192 offset:10080
	;; [unrolled: 1-line block ×13, first 2 shown]
	ds_read_b128 v[145:148], v192
	ds_read_b128 v[149:152], v192 offset:1008
	v_lshl_add_u32 v200, v80, 4, 0
	v_mov_b32_e32 v70, 5
	v_and_b32_e32 v72, 0xff, v187
	v_lshl_add_u32 v197, v77, 4, 0
	v_mul_lo_u16 v77, v74, 24
	v_mul_lo_u16 v71, v71, 57
	v_lshlrev_b32_sdwa v201, v70, v76 dst_sel:DWORD dst_unused:UNUSED_PAD src0_sel:DWORD src1_sel:BYTE_0
	v_sub_nc_u16 v77, v69, v77
	v_lshrrev_b16 v71, 12, v71
	s_waitcnt vmcnt(15) lgkmcnt(17)
	v_mul_f64 v[78:79], v[83:84], v[6:7]
	v_mul_f64 v[6:7], v[81:82], v[6:7]
	s_waitcnt vmcnt(14) lgkmcnt(16)
	v_mul_f64 v[153:154], v[87:88], v[2:3]
	v_mul_f64 v[155:156], v[85:86], v[2:3]
	s_waitcnt vmcnt(13) lgkmcnt(15)
	v_mul_f64 v[157:158], v[91:92], v[14:15]
	v_mul_f64 v[14:15], v[89:90], v[14:15]
	s_waitcnt vmcnt(12) lgkmcnt(13)
	v_mul_f64 v[161:162], v[99:100], v[18:19]
	s_waitcnt vmcnt(11)
	v_mul_f64 v[159:160], v[95:96], v[10:11]
	v_mul_f64 v[10:11], v[93:94], v[10:11]
	;; [unrolled: 1-line block ×3, first 2 shown]
	v_fma_f64 v[163:164], v[81:82], v[4:5], -v[78:79]
	v_fma_f64 v[82:83], v[83:84], v[4:5], v[6:7]
	s_waitcnt vmcnt(10) lgkmcnt(11)
	v_mul_f64 v[6:7], v[107:108], v[22:23]
	v_mul_f64 v[22:23], v[105:106], v[22:23]
	v_fma_f64 v[84:85], v[85:86], v[0:1], -v[153:154]
	v_fma_f64 v[0:1], v[87:88], v[0:1], v[155:156]
	s_waitcnt vmcnt(9)
	v_mul_f64 v[86:87], v[103:104], v[30:31]
	v_mul_f64 v[30:31], v[101:102], v[30:31]
	s_waitcnt vmcnt(7) lgkmcnt(10)
	v_mul_f64 v[153:154], v[111:112], v[26:27]
	v_fma_f64 v[88:89], v[89:90], v[12:13], -v[157:158]
	v_fma_f64 v[90:91], v[91:92], v[12:13], v[14:15]
	v_mul_f64 v[12:13], v[109:110], v[26:27]
	s_waitcnt lgkmcnt(9)
	v_mul_f64 v[14:15], v[115:116], v[38:39]
	v_mul_f64 v[26:27], v[113:114], v[38:39]
	s_waitcnt vmcnt(6) lgkmcnt(7)
	v_mul_f64 v[38:39], v[123:124], v[34:35]
	v_mul_f64 v[34:35], v[121:122], v[34:35]
	s_waitcnt vmcnt(5)
	v_mul_f64 v[155:156], v[119:120], v[54:55]
	v_mul_f64 v[54:55], v[117:118], v[54:55]
	s_waitcnt vmcnt(4) lgkmcnt(6)
	v_mul_f64 v[157:158], v[127:128], v[50:51]
	v_mul_f64 v[50:51], v[125:126], v[50:51]
	v_fma_f64 v[92:93], v[93:94], v[8:9], -v[159:160]
	v_fma_f64 v[94:95], v[95:96], v[8:9], v[10:11]
	v_fma_f64 v[96:97], v[97:98], v[16:17], -v[161:162]
	s_waitcnt vmcnt(3) lgkmcnt(5)
	v_mul_f64 v[159:160], v[131:132], v[46:47]
	v_mul_f64 v[46:47], v[129:130], v[46:47]
	s_waitcnt vmcnt(2) lgkmcnt(3)
	v_mul_f64 v[161:162], v[139:140], v[42:43]
	v_fma_f64 v[107:108], v[107:108], v[20:21], v[22:23]
	v_mul_f64 v[22:23], v[137:138], v[42:43]
	s_waitcnt vmcnt(1)
	v_mul_f64 v[42:43], v[135:136], v[58:59]
	v_mul_f64 v[58:59], v[133:134], v[58:59]
	s_waitcnt vmcnt(0) lgkmcnt(2)
	v_mul_f64 v[165:166], v[143:144], v[62:63]
	v_fma_f64 v[86:87], v[101:102], v[28:29], -v[86:87]
	v_fma_f64 v[28:29], v[103:104], v[28:29], v[30:31]
	v_mul_f64 v[30:31], v[141:142], v[62:63]
	v_fma_f64 v[98:99], v[99:100], v[16:17], v[18:19]
	v_fma_f64 v[105:106], v[105:106], v[20:21], -v[6:7]
	v_fma_f64 v[62:63], v[109:110], v[24:25], -v[153:154]
	v_fma_f64 v[100:101], v[111:112], v[24:25], v[12:13]
	v_fma_f64 v[24:25], v[113:114], v[36:37], -v[14:15]
	v_fma_f64 v[26:27], v[115:116], v[36:37], v[26:27]
	;; [unrolled: 2-line block ×3, first 2 shown]
	ds_read_b128 v[2:5], v192 offset:2016
	ds_read_b128 v[78:81], v192 offset:3024
	v_fma_f64 v[32:33], v[117:118], v[52:53], -v[155:156]
	v_fma_f64 v[38:39], v[119:120], v[52:53], v[54:55]
	v_fma_f64 v[52:53], v[125:126], v[48:49], -v[157:158]
	v_fma_f64 v[48:49], v[127:128], v[48:49], v[50:51]
	;; [unrolled: 2-line block ×4, first 2 shown]
	ds_read_b128 v[6:9], v192 offset:4032
	ds_read_b128 v[10:13], v192 offset:5040
	v_fma_f64 v[22:23], v[133:134], v[56:57], -v[42:43]
	v_fma_f64 v[42:43], v[135:136], v[56:57], v[58:59]
	v_fma_f64 v[54:55], v[141:142], v[60:61], -v[165:166]
	v_fma_f64 v[56:57], v[143:144], v[60:61], v[30:31]
	v_add_f64 v[30:31], v[163:164], v[84:85]
	v_add_f64 v[58:59], v[82:83], v[0:1]
	ds_read_b128 v[14:17], v192 offset:6048
	ds_read_b128 v[18:21], v192 offset:7056
	s_waitcnt lgkmcnt(7)
	v_add_f64 v[60:61], v[147:148], v[82:83]
	v_add_f64 v[102:103], v[145:146], v[163:164]
	;; [unrolled: 1-line block ×4, first 2 shown]
	s_waitcnt lgkmcnt(6)
	v_add_f64 v[117:118], v[149:150], v[88:89]
	v_add_f64 v[119:120], v[96:97], v[105:106]
	;; [unrolled: 1-line block ×6, first 2 shown]
	s_waitcnt lgkmcnt(4)
	v_add_f64 v[133:134], v[78:79], v[86:87]
	v_add_f64 v[137:138], v[24:25], v[36:37]
	;; [unrolled: 1-line block ×8, first 2 shown]
	s_waitcnt lgkmcnt(2)
	v_add_f64 v[161:162], v[12:13], v[38:39]
	v_add_f64 v[165:166], v[38:39], -v[48:49]
	v_add_f64 v[38:39], v[50:51], v[46:47]
	v_add_f64 v[169:170], v[44:45], v[40:41]
	s_waitcnt lgkmcnt(1)
	v_add_f64 v[171:172], v[16:17], v[44:45]
	v_add_f64 v[173:174], v[14:15], v[50:51]
	v_add_f64 v[175:176], v[44:45], -v[40:41]
	v_add_f64 v[177:178], v[50:51], -v[46:47]
	v_add_f64 v[44:45], v[22:23], v[54:55]
	v_add_f64 v[50:51], v[42:43], v[56:57]
	v_add_f64 v[82:83], v[82:83], -v[0:1]
	v_add_f64 v[109:110], v[163:164], -v[84:85]
	v_add_f64 v[141:142], v[8:9], v[26:27]
	v_add_f64 v[143:144], v[6:7], v[24:25]
	v_fma_f64 v[145:146], v[30:31], -0.5, v[145:146]
	v_fma_f64 v[58:59], v[58:59], -0.5, v[147:148]
	v_add_f64 v[90:91], v[90:91], -v[94:95]
	v_add_f64 v[88:89], v[88:89], -v[92:93]
	;; [unrolled: 1-line block ×3, first 2 shown]
	s_waitcnt lgkmcnt(0)
	v_add_f64 v[179:180], v[20:21], v[42:43]
	v_add_f64 v[147:148], v[18:19], v[22:23]
	v_add_f64 v[181:182], v[42:43], -v[56:57]
	v_add_f64 v[193:194], v[22:23], -v[54:55]
	v_add_f64 v[24:25], v[60:61], v[0:1]
	v_add_f64 v[22:23], v[102:103], v[84:85]
	v_fma_f64 v[42:43], v[111:112], -0.5, v[149:150]
	v_fma_f64 v[60:61], v[113:114], -0.5, v[151:152]
	v_add_f64 v[98:99], v[98:99], -v[107:108]
	v_add_f64 v[96:97], v[96:97], -v[105:106]
	;; [unrolled: 1-line block ×3, first 2 shown]
	v_add_f64 v[26:27], v[117:118], v[92:93]
	v_fma_f64 v[84:85], v[119:120], -0.5, v[2:3]
	v_fma_f64 v[92:93], v[121:122], -0.5, v[4:5]
	v_add_f64 v[163:164], v[10:11], v[32:33]
	v_add_f64 v[135:136], v[28:29], -v[100:101]
	v_add_f64 v[86:87], v[86:87], -v[62:63]
	v_fma_f64 v[78:79], v[127:128], -0.5, v[78:79]
	v_fma_f64 v[80:81], v[129:130], -0.5, v[80:81]
	v_add_f64 v[28:29], v[115:116], v[94:95]
	v_add_f64 v[30:31], v[133:134], v[62:63]
	v_fma_f64 v[62:63], v[137:138], -0.5, v[6:7]
	v_fma_f64 v[94:95], v[139:140], -0.5, v[8:9]
	v_add_f64 v[167:168], v[32:33], -v[52:53]
	v_add_f64 v[32:33], v[131:132], v[100:101]
	v_fma_f64 v[100:101], v[157:158], -0.5, v[10:11]
	v_fma_f64 v[102:103], v[159:160], -0.5, v[12:13]
	v_add_f64 v[2:3], v[123:124], v[107:108]
	v_add_f64 v[0:1], v[125:126], v[105:106]
	v_fma_f64 v[104:105], v[38:39], -0.5, v[14:15]
	v_fma_f64 v[106:107], v[169:170], -0.5, v[16:17]
	;; [unrolled: 1-line block ×4, first 2 shown]
	v_add_f64 v[6:7], v[141:142], v[34:35]
	v_add_f64 v[4:5], v[143:144], v[36:37]
	v_fma_f64 v[34:35], v[82:83], s[4:5], v[145:146]
	v_fma_f64 v[36:37], v[109:110], s[6:7], v[58:59]
	v_add_f64 v[14:15], v[171:172], v[40:41]
	v_fma_f64 v[38:39], v[82:83], s[6:7], v[145:146]
	v_fma_f64 v[40:41], v[109:110], s[4:5], v[58:59]
	s_barrier
	buffer_gl0_inv
	ds_write_b128 v183, v[22:25]
	v_fma_f64 v[20:21], v[90:91], s[4:5], v[42:43]
	v_fma_f64 v[22:23], v[88:89], s[6:7], v[60:61]
	;; [unrolled: 1-line block ×4, first 2 shown]
	v_add_f64 v[10:11], v[161:162], v[48:49]
	v_add_f64 v[12:13], v[173:174], v[46:47]
	v_fma_f64 v[46:47], v[98:99], s[4:5], v[84:85]
	v_fma_f64 v[48:49], v[96:97], s[6:7], v[92:93]
	v_add_f64 v[8:9], v[163:164], v[52:53]
	v_fma_f64 v[50:51], v[98:99], s[6:7], v[84:85]
	v_fma_f64 v[52:53], v[96:97], s[4:5], v[92:93]
	v_add_f64 v[18:19], v[179:180], v[56:57]
	v_add_f64 v[16:17], v[147:148], v[54:55]
	v_fma_f64 v[54:55], v[135:136], s[4:5], v[78:79]
	v_fma_f64 v[56:57], v[86:87], s[6:7], v[80:81]
	v_fma_f64 v[58:59], v[135:136], s[6:7], v[78:79]
	v_fma_f64 v[60:61], v[86:87], s[4:5], v[80:81]
	v_fma_f64 v[78:79], v[153:154], s[4:5], v[62:63]
	v_fma_f64 v[80:81], v[155:156], s[6:7], v[94:95]
	v_fma_f64 v[82:83], v[153:154], s[6:7], v[62:63]
	v_fma_f64 v[84:85], v[155:156], s[4:5], v[94:95]
	v_fma_f64 v[86:87], v[165:166], s[4:5], v[100:101]
	v_fma_f64 v[88:89], v[167:168], s[6:7], v[102:103]
	v_fma_f64 v[90:91], v[165:166], s[6:7], v[100:101]
	v_fma_f64 v[92:93], v[167:168], s[4:5], v[102:103]
	v_fma_f64 v[94:95], v[175:176], s[4:5], v[104:105]
	v_fma_f64 v[96:97], v[177:178], s[6:7], v[106:107]
	v_fma_f64 v[98:99], v[175:176], s[6:7], v[104:105]
	v_fma_f64 v[100:101], v[177:178], s[4:5], v[106:107]
	v_fma_f64 v[102:103], v[181:182], s[4:5], v[111:112]
	v_fma_f64 v[104:105], v[193:194], s[6:7], v[113:114]
	v_fma_f64 v[106:107], v[181:182], s[6:7], v[111:112]
	v_fma_f64 v[108:109], v[193:194], s[4:5], v[113:114]
	ds_write_b128 v183, v[34:37] offset:128
	ds_write_b128 v183, v[38:41] offset:256
	ds_write_b128 v191, v[26:29]
	ds_write_b128 v191, v[20:23] offset:128
	ds_write_b128 v191, v[42:45] offset:256
	ds_write_b128 v195, v[0:3]
	;; [unrolled: 3-line block ×7, first 2 shown]
	ds_write_b128 v200, v[102:105] offset:128
	ds_write_b128 v200, v[106:109] offset:256
	s_waitcnt lgkmcnt(0)
	s_barrier
	buffer_gl0_inv
	v_mul_lo_u16 v4, 0xab, v72
	global_load_dwordx4 v[12:15], v201, s[12:13] offset:368
	v_mul_lo_u16 v5, v75, 24
	v_mov_b32_e32 v20, 0xaaab
	v_lshlrev_b32_sdwa v6, v70, v77 dst_sel:DWORD dst_unused:UNUSED_PAD src0_sel:DWORD src1_sel:BYTE_0
	v_lshrrev_b16 v79, 12, v4
	global_load_dwordx4 v[0:3], v201, s[12:13] offset:352
	v_sub_nc_u16 v78, v64, v5
	v_mul_u32_u24_sdwa v7, v65, v20 dst_sel:DWORD dst_unused:UNUSED_PAD src0_sel:WORD_0 src1_sel:DWORD
	global_load_dwordx4 v[8:11], v6, s[12:13] offset:352
	v_mul_lo_u16 v16, v79, 24
	v_mul_u32_u24_sdwa v22, v66, v20 dst_sel:DWORD dst_unused:UNUSED_PAD src0_sel:WORD_0 src1_sel:DWORD
	v_lshlrev_b32_sdwa v21, v70, v78 dst_sel:DWORD dst_unused:UNUSED_PAD src0_sel:DWORD src1_sel:BYTE_0
	v_lshrrev_b32_e32 v80, 20, v7
	v_mul_u32_u24_sdwa v23, v67, v20 dst_sel:DWORD dst_unused:UNUSED_PAD src0_sel:WORD_0 src1_sel:DWORD
	v_sub_nc_u16 v81, v187, v16
	v_lshrrev_b32_e32 v82, 20, v22
	s_clause 0x2
	global_load_dwordx4 v[16:19], v21, s[12:13] offset:352
	global_load_dwordx4 v[4:7], v6, s[12:13] offset:368
	global_load_dwordx4 v[56:59], v21, s[12:13] offset:368
	v_lshlrev_b32_sdwa v22, v70, v81 dst_sel:DWORD dst_unused:UNUSED_PAD src0_sel:DWORD src1_sel:BYTE_0
	v_mul_lo_u16 v24, v80, 24
	v_mul_u32_u24_sdwa v20, v68, v20 dst_sel:DWORD dst_unused:UNUSED_PAD src0_sel:WORD_0 src1_sel:DWORD
	v_lshrrev_b32_e32 v85, 20, v23
	v_mul_lo_u16 v23, v82, 24
	global_load_dwordx4 v[52:55], v22, s[12:13] offset:352
	v_sub_nc_u16 v83, v65, v24
	v_lshrrev_b32_e32 v87, 20, v20
	v_mul_lo_u16 v21, v85, 24
	v_sub_nc_u16 v84, v66, v23
	v_mov_b32_e32 v191, 0
	v_lshlrev_b32_sdwa v20, v70, v83 dst_sel:DWORD dst_unused:UNUSED_PAD src0_sel:DWORD src1_sel:WORD_0
	v_mul_lo_u16 v25, v87, 24
	v_sub_nc_u16 v86, v67, v21
	v_lshlrev_b32_sdwa v24, v70, v84 dst_sel:DWORD dst_unused:UNUSED_PAD src0_sel:DWORD src1_sel:WORD_0
	s_clause 0x3
	global_load_dwordx4 v[48:51], v22, s[12:13] offset:368
	global_load_dwordx4 v[40:43], v20, s[12:13] offset:352
	;; [unrolled: 1-line block ×4, first 2 shown]
	v_sub_nc_u16 v88, v68, v25
	v_lshlrev_b32_sdwa v26, v70, v86 dst_sel:DWORD dst_unused:UNUSED_PAD src0_sel:DWORD src1_sel:WORD_0
	s_clause 0x1
	global_load_dwordx4 v[36:39], v24, s[12:13] offset:368
	global_load_dwordx4 v[28:31], v26, s[12:13] offset:352
	v_lshlrev_b32_sdwa v60, v70, v88 dst_sel:DWORD dst_unused:UNUSED_PAD src0_sel:DWORD src1_sel:WORD_0
	s_clause 0x2
	global_load_dwordx4 v[24:27], v26, s[12:13] offset:368
	global_load_dwordx4 v[44:47], v60, s[12:13] offset:352
	;; [unrolled: 1-line block ×3, first 2 shown]
	v_lshlrev_b64 v[91:92], 4, v[190:191]
	v_add_nc_u32_e32 v90, -9, v186
	v_mov_b32_e32 v93, 0x480
	v_mov_b32_e32 v94, 0xe38f
	;; [unrolled: 1-line block ×3, first 2 shown]
	v_mul_u32_u24_e32 v80, 0x480, v80
	v_cndmask_b32_e64 v90, v90, v69, s0
	v_add_co_u32 v151, s0, s12, v91
	v_mul_u32_u24_sdwa v69, v65, v94 dst_sel:DWORD dst_unused:UNUSED_PAD src0_sel:WORD_0 src1_sel:DWORD
	v_mul_u32_u24_sdwa v183, v66, v94 dst_sel:DWORD dst_unused:UNUSED_PAD src0_sel:WORD_0 src1_sel:DWORD
	;; [unrolled: 1-line block ×4, first 2 shown]
	v_add_co_ci_u32_e64 v152, s0, s13, v92, s0
	v_mul_u32_u24_sdwa v91, v73, v93 dst_sel:DWORD dst_unused:UNUSED_PAD src0_sel:WORD_0 src1_sel:DWORD
	v_mul_u32_u24_e32 v92, 0x480, v82
	v_mul_u32_u24_e32 v94, 0x480, v85
	v_mul_u32_u24_sdwa v95, v74, v93 dst_sel:DWORD dst_unused:UNUSED_PAD src0_sel:WORD_0 src1_sel:DWORD
	v_mul_u32_u24_sdwa v96, v75, v93 dst_sel:DWORD dst_unused:UNUSED_PAD src0_sel:WORD_0 src1_sel:DWORD
	;; [unrolled: 1-line block ×3, first 2 shown]
	v_lshlrev_b32_sdwa v79, v89, v83 dst_sel:DWORD dst_unused:UNUSED_PAD src0_sel:DWORD src1_sel:WORD_0
	v_lshlrev_b32_sdwa v93, v89, v84 dst_sel:DWORD dst_unused:UNUSED_PAD src0_sel:DWORD src1_sel:WORD_0
	ds_read_b128 v[82:85], v192 offset:16128
	v_lshlrev_b32_e32 v190, 1, v90
	v_lshlrev_b32_sdwa v76, v89, v76 dst_sel:DWORD dst_unused:UNUSED_PAD src0_sel:DWORD src1_sel:BYTE_0
	v_lshlrev_b32_sdwa v86, v89, v86 dst_sel:DWORD dst_unused:UNUSED_PAD src0_sel:DWORD src1_sel:WORD_0
	v_mul_lo_u16 v195, v72, 57
	ds_read_b128 v[72:75], v192 offset:8064
	v_lshlrev_b64 v[153:154], 4, v[190:191]
	v_add3_u32 v190, 0, v91, v76
	v_lshlrev_b32_sdwa v91, v89, v77 dst_sel:DWORD dst_unused:UNUSED_PAD src0_sel:DWORD src1_sel:BYTE_0
	v_lshlrev_b32_sdwa v98, v89, v78 dst_sel:DWORD dst_unused:UNUSED_PAD src0_sel:DWORD src1_sel:BYTE_0
	v_add3_u32 v196, 0, v80, v79
	ds_read_b128 v[76:79], v192 offset:9072
	v_mul_u32_u24_e32 v87, 0x480, v87
	v_lshlrev_b32_sdwa v88, v89, v88 dst_sel:DWORD dst_unused:UNUSED_PAD src0_sel:DWORD src1_sel:WORD_0
	v_add3_u32 v197, 0, v92, v93
	v_add3_u32 v198, 0, v94, v86
	;; [unrolled: 1-line block ×3, first 2 shown]
	ds_read_b128 v[91:94], v192 offset:17136
	v_lshlrev_b32_sdwa v81, v89, v81 dst_sel:DWORD dst_unused:UNUSED_PAD src0_sel:DWORD src1_sel:BYTE_0
	v_add3_u32 v88, 0, v87, v88
	v_add3_u32 v200, 0, v96, v98
	v_lshrrev_b32_e32 v69, 22, v69
	v_add3_u32 v201, 0, v97, v81
	ds_read_b128 v[95:98], v192 offset:10080
	ds_read_b128 v[99:102], v192 offset:11088
	;; [unrolled: 1-line block ×12, first 2 shown]
	ds_read_b128 v[143:146], v192
	ds_read_b128 v[147:150], v192 offset:1008
	s_waitcnt vmcnt(15) lgkmcnt(17)
	v_mul_f64 v[86:87], v[84:85], v[14:15]
	v_mul_f64 v[14:15], v[82:83], v[14:15]
	s_waitcnt vmcnt(14) lgkmcnt(16)
	v_mul_f64 v[80:81], v[74:75], v[2:3]
	v_mul_f64 v[2:3], v[72:73], v[2:3]
	;; [unrolled: 3-line block ×3, first 2 shown]
	s_waitcnt vmcnt(12) lgkmcnt(13)
	v_mul_f64 v[159:160], v[97:98], v[18:19]
	s_waitcnt vmcnt(11)
	v_mul_f64 v[157:158], v[93:94], v[6:7]
	v_mul_f64 v[6:7], v[91:92], v[6:7]
	;; [unrolled: 1-line block ×3, first 2 shown]
	v_fma_f64 v[82:83], v[82:83], v[12:13], -v[86:87]
	v_fma_f64 v[84:85], v[84:85], v[12:13], v[14:15]
	s_waitcnt vmcnt(10) lgkmcnt(11)
	v_mul_f64 v[12:13], v[105:106], v[58:59]
	v_mul_f64 v[14:15], v[103:104], v[58:59]
	s_waitcnt vmcnt(9)
	v_mul_f64 v[58:59], v[101:102], v[54:55]
	v_mul_f64 v[54:55], v[99:100], v[54:55]
	v_fma_f64 v[80:81], v[72:73], v[0:1], -v[80:81]
	v_fma_f64 v[161:162], v[74:75], v[0:1], v[2:3]
	v_fma_f64 v[76:77], v[76:77], v[8:9], -v[155:156]
	v_fma_f64 v[78:79], v[78:79], v[8:9], v[10:11]
	ds_read_b128 v[0:3], v192 offset:2016
	ds_read_b128 v[72:75], v192 offset:3024
	s_waitcnt vmcnt(8) lgkmcnt(12)
	v_mul_f64 v[8:9], v[109:110], v[50:51]
	v_mul_f64 v[10:11], v[107:108], v[50:51]
	s_waitcnt vmcnt(7) lgkmcnt(11)
	v_mul_f64 v[50:51], v[113:114], v[42:43]
	v_mul_f64 v[42:43], v[111:112], v[42:43]
	;; [unrolled: 3-line block ×3, first 2 shown]
	v_fma_f64 v[86:87], v[91:92], v[4:5], -v[157:158]
	v_fma_f64 v[91:92], v[93:94], v[4:5], v[6:7]
	s_waitcnt lgkmcnt(9)
	v_mul_f64 v[93:94], v[121:122], v[34:35]
	v_mul_f64 v[34:35], v[119:120], v[34:35]
	s_waitcnt vmcnt(4) lgkmcnt(8)
	v_mul_f64 v[157:158], v[125:126], v[38:39]
	v_mul_f64 v[38:39], v[123:124], v[38:39]
	v_fma_f64 v[95:96], v[95:96], v[16:17], -v[159:160]
	s_waitcnt vmcnt(3) lgkmcnt(7)
	v_mul_f64 v[159:160], v[129:130], v[30:31]
	v_mul_f64 v[30:31], v[127:128], v[30:31]
	v_fma_f64 v[103:104], v[103:104], v[56:57], -v[12:13]
	v_fma_f64 v[56:57], v[105:106], v[56:57], v[14:15]
	s_waitcnt vmcnt(2) lgkmcnt(5)
	v_mul_f64 v[105:106], v[137:138], v[26:27]
	v_mul_f64 v[26:27], v[135:136], v[26:27]
	s_waitcnt vmcnt(1)
	v_mul_f64 v[163:164], v[133:134], v[46:47]
	v_mul_f64 v[46:47], v[131:132], v[46:47]
	v_fma_f64 v[58:59], v[99:100], v[52:53], -v[58:59]
	v_fma_f64 v[52:53], v[101:102], v[52:53], v[54:55]
	s_waitcnt vmcnt(0) lgkmcnt(4)
	v_mul_f64 v[54:55], v[141:142], v[62:63]
	v_mul_f64 v[62:63], v[139:140], v[62:63]
	v_fma_f64 v[97:98], v[97:98], v[16:17], v[18:19]
	v_fma_f64 v[99:100], v[107:108], v[48:49], -v[8:9]
	v_fma_f64 v[48:49], v[109:110], v[48:49], v[10:11]
	v_fma_f64 v[50:51], v[111:112], v[40:41], -v[50:51]
	;; [unrolled: 2-line block ×5, first 2 shown]
	v_fma_f64 v[36:37], v[125:126], v[36:37], v[38:39]
	ds_read_b128 v[4:7], v192 offset:4032
	ds_read_b128 v[8:11], v192 offset:5040
	v_fma_f64 v[22:23], v[127:128], v[28:29], -v[159:160]
	v_fma_f64 v[28:29], v[129:130], v[28:29], v[30:31]
	v_fma_f64 v[38:39], v[135:136], v[24:25], -v[105:106]
	v_fma_f64 v[101:102], v[137:138], v[24:25], v[26:27]
	;; [unrolled: 2-line block ×3, first 2 shown]
	v_add_f64 v[30:31], v[80:81], v[82:83]
	ds_read_b128 v[12:15], v192 offset:6048
	ds_read_b128 v[16:19], v192 offset:7056
	v_fma_f64 v[44:45], v[139:140], v[60:61], -v[54:55]
	v_fma_f64 v[46:47], v[141:142], v[60:61], v[62:63]
	v_add_f64 v[54:55], v[161:162], v[84:85]
	s_waitcnt lgkmcnt(7)
	v_add_f64 v[60:61], v[145:146], v[161:162]
	v_add_f64 v[62:63], v[143:144], v[80:81]
	;; [unrolled: 1-line block ×6, first 2 shown]
	s_waitcnt lgkmcnt(5)
	v_add_f64 v[119:120], v[2:3], v[97:98]
	v_add_f64 v[123:124], v[58:59], v[99:100]
	;; [unrolled: 1-line block ×4, first 2 shown]
	s_waitcnt lgkmcnt(4)
	v_add_f64 v[127:128], v[74:75], v[52:53]
	v_add_f64 v[131:132], v[52:53], -v[48:49]
	v_add_f64 v[52:53], v[50:51], v[42:43]
	v_add_f64 v[133:134], v[40:41], v[32:33]
	;; [unrolled: 1-line block ×4, first 2 shown]
	s_waitcnt lgkmcnt(3)
	v_add_f64 v[135:136], v[6:7], v[40:41]
	v_add_f64 v[137:138], v[4:5], v[50:51]
	v_add_f64 v[139:140], v[40:41], -v[32:33]
	v_add_f64 v[141:142], v[50:51], -v[42:43]
	v_add_f64 v[40:41], v[34:35], v[93:94]
	v_add_f64 v[50:51], v[20:21], v[36:37]
	v_add_f64 v[105:106], v[161:162], -v[84:85]
	v_add_f64 v[121:122], v[0:1], v[95:96]
	s_waitcnt lgkmcnt(2)
	v_add_f64 v[157:158], v[8:9], v[34:35]
	v_add_f64 v[161:162], v[34:35], -v[93:94]
	v_add_f64 v[34:35], v[22:23], v[38:39]
	v_add_f64 v[163:164], v[28:29], v[101:102]
	s_waitcnt lgkmcnt(1)
	v_add_f64 v[165:166], v[14:15], v[28:29]
	v_add_f64 v[173:174], v[24:25], v[44:45]
	;; [unrolled: 1-line block ×3, first 2 shown]
	v_add_f64 v[80:81], v[80:81], -v[82:83]
	v_fma_f64 v[143:144], v[30:31], -0.5, v[143:144]
	v_fma_f64 v[54:55], v[54:55], -0.5, v[145:146]
	v_add_f64 v[155:156], v[10:11], v[20:21]
	v_add_f64 v[167:168], v[12:13], v[22:23]
	v_add_f64 v[78:79], v[78:79], -v[91:92]
	v_add_f64 v[76:77], v[76:77], -v[86:87]
	v_add_f64 v[159:160], v[20:21], -v[36:37]
	v_add_f64 v[171:172], v[22:23], -v[38:39]
	v_add_f64 v[22:23], v[60:61], v[84:85]
	v_add_f64 v[20:21], v[62:63], v[82:83]
	v_fma_f64 v[60:61], v[107:108], -0.5, v[147:148]
	v_fma_f64 v[62:63], v[109:110], -0.5, v[149:150]
	v_add_f64 v[97:98], v[97:98], -v[56:57]
	v_add_f64 v[95:96], v[95:96], -v[103:104]
	s_waitcnt lgkmcnt(0)
	v_add_f64 v[145:146], v[18:19], v[26:27]
	v_add_f64 v[177:178], v[16:17], v[24:25]
	v_fma_f64 v[82:83], v[115:116], -0.5, v[0:1]
	v_fma_f64 v[84:85], v[117:118], -0.5, v[2:3]
	v_add_f64 v[58:59], v[58:59], -v[99:100]
	v_add_f64 v[2:3], v[119:120], v[56:57]
	v_fma_f64 v[56:57], v[123:124], -0.5, v[72:73]
	v_fma_f64 v[72:73], v[125:126], -0.5, v[74:75]
	v_add_f64 v[181:182], v[24:25], -v[44:45]
	;; [unrolled: 4-line block ×3, first 2 shown]
	v_add_f64 v[179:180], v[26:27], -v[46:47]
	v_add_f64 v[26:27], v[111:112], v[91:92]
	v_add_f64 v[28:29], v[129:130], v[99:100]
	v_fma_f64 v[91:92], v[40:41], -0.5, v[8:9]
	v_fma_f64 v[99:100], v[50:51], -0.5, v[10:11]
	v_add_f64 v[0:1], v[121:122], v[103:104]
	v_add_f64 v[8:9], v[157:158], v[93:94]
	v_fma_f64 v[93:94], v[34:35], -0.5, v[12:13]
	v_fma_f64 v[103:104], v[163:164], -0.5, v[14:15]
	v_add_f64 v[14:15], v[165:166], v[101:102]
	v_fma_f64 v[101:102], v[173:174], -0.5, v[16:17]
	v_fma_f64 v[107:108], v[175:176], -0.5, v[18:19]
	v_add_f64 v[6:7], v[135:136], v[32:33]
	v_fma_f64 v[32:33], v[105:106], s[4:5], v[143:144]
	v_fma_f64 v[34:35], v[80:81], s[6:7], v[54:55]
	v_add_f64 v[10:11], v[155:156], v[36:37]
	v_add_f64 v[12:13], v[167:168], v[38:39]
	v_fma_f64 v[36:37], v[105:106], s[6:7], v[143:144]
	v_fma_f64 v[38:39], v[80:81], s[4:5], v[54:55]
	s_barrier
	buffer_gl0_inv
	ds_write_b128 v190, v[20:23]
	v_fma_f64 v[20:21], v[78:79], s[4:5], v[60:61]
	v_fma_f64 v[22:23], v[76:77], s[6:7], v[62:63]
	v_add_f64 v[4:5], v[137:138], v[42:43]
	v_fma_f64 v[40:41], v[78:79], s[6:7], v[60:61]
	v_fma_f64 v[42:43], v[76:77], s[4:5], v[62:63]
	v_add_f64 v[18:19], v[145:146], v[46:47]
	v_add_f64 v[16:17], v[177:178], v[44:45]
	v_fma_f64 v[44:45], v[97:98], s[4:5], v[82:83]
	v_fma_f64 v[46:47], v[95:96], s[6:7], v[84:85]
	v_add_f64 v[30:31], v[127:128], v[48:49]
	v_fma_f64 v[48:49], v[97:98], s[6:7], v[82:83]
	v_fma_f64 v[50:51], v[95:96], s[4:5], v[84:85]
	;; [unrolled: 1-line block ×22, first 2 shown]
	ds_write_b128 v190, v[32:35] offset:384
	ds_write_b128 v190, v[36:39] offset:768
	ds_write_b128 v199, v[24:27]
	ds_write_b128 v199, v[20:23] offset:384
	ds_write_b128 v199, v[40:43] offset:768
	ds_write_b128 v200, v[0:3]
	;; [unrolled: 3-line block ×7, first 2 shown]
	ds_write_b128 v88, v[95:98] offset:384
	ds_write_b128 v88, v[99:102] offset:768
	v_lshrrev_b16 v72, 12, v195
	v_mul_lo_u16 v2, 0x48, v71
	v_mul_lo_u16 v4, 0x48, v69
	v_add_co_u32 v0, s0, s12, v153
	s_waitcnt lgkmcnt(0)
	v_sub_nc_u16 v75, v64, v2
	v_mul_lo_u16 v2, 0x48, v72
	v_sub_nc_u16 v65, v65, v4
	s_barrier
	buffer_gl0_inv
	global_load_dwordx4 v[56:59], v[151:152], off offset:1120
	v_add_co_ci_u32_e64 v1, s0, s13, v154, s0
	global_load_dwordx4 v[44:47], v[151:152], off offset:1136
	v_sub_nc_u16 v76, v187, v2
	v_lshlrev_b32_sdwa v6, v70, v65 dst_sel:DWORD dst_unused:UNUSED_PAD src0_sel:DWORD src1_sel:WORD_0
	s_clause 0x1
	global_load_dwordx4 v[48:51], v[0:1], off offset:1136
	global_load_dwordx4 v[52:55], v[0:1], off offset:1120
	v_lshlrev_b32_sdwa v5, v70, v75 dst_sel:DWORD dst_unused:UNUSED_PAD src0_sel:DWORD src1_sel:BYTE_0
	v_lshrrev_b32_e32 v73, 22, v183
	global_load_dwordx4 v[12:15], v6, s[12:13] offset:1136
	v_lshrrev_b32_e32 v74, 22, v193
	v_lshrrev_b32_e32 v3, 22, v194
	v_lshlrev_b32_sdwa v0, v70, v76 dst_sel:DWORD dst_unused:UNUSED_PAD src0_sel:DWORD src1_sel:BYTE_0
	global_load_dwordx4 v[40:43], v5, s[12:13] offset:1120
	v_mul_lo_u16 v2, 0x48, v73
	s_clause 0x1
	global_load_dwordx4 v[28:31], v5, s[12:13] offset:1136
	global_load_dwordx4 v[16:19], v6, s[12:13] offset:1120
	v_mul_lo_u16 v4, 0x48, v74
	global_load_dwordx4 v[36:39], v0, s[12:13] offset:1120
	v_mul_lo_u16 v5, 0x48, v3
	v_sub_nc_u16 v77, v66, v2
	global_load_dwordx4 v[0:3], v0, s[12:13] offset:1136
	v_sub_nc_u16 v78, v67, v4
	v_cmp_lt_u32_e64 s0, 8, v186
	v_sub_nc_u16 v4, v68, v5
	v_lshlrev_b32_sdwa v5, v70, v77 dst_sel:DWORD dst_unused:UNUSED_PAD src0_sel:DWORD src1_sel:WORD_0
	v_lshlrev_b32_e32 v67, 4, v90
	v_lshlrev_b32_sdwa v6, v70, v78 dst_sel:DWORD dst_unused:UNUSED_PAD src0_sel:DWORD src1_sel:WORD_0
	v_cndmask_b32_e64 v66, 0, 0xd80, s0
	v_and_b32_e32 v64, 0xffff, v4
	s_clause 0x2
	global_load_dwordx4 v[24:27], v5, s[12:13] offset:1120
	global_load_dwordx4 v[20:23], v5, s[12:13] offset:1136
	;; [unrolled: 1-line block ×3, first 2 shown]
	v_mov_b32_e32 v68, 0xd80
	v_mul_u32_u24_e32 v69, 0xd80, v69
	v_lshlrev_b32_e32 v60, 5, v64
	s_clause 0x2
	global_load_dwordx4 v[4:7], v6, s[12:13] offset:1136
	global_load_dwordx4 v[32:35], v60, s[12:13] offset:1120
	;; [unrolled: 1-line block ×3, first 2 shown]
	v_lshlrev_b32_sdwa v70, v89, v65 dst_sel:DWORD dst_unused:UNUSED_PAD src0_sel:DWORD src1_sel:WORD_0
	v_add3_u32 v173, 0, v66, v67
	v_mul_u32_u24_sdwa v79, v71, v68 dst_sel:DWORD dst_unused:UNUSED_PAD src0_sel:WORD_0 src1_sel:DWORD
	v_mul_u32_u24_sdwa v80, v72, v68 dst_sel:DWORD dst_unused:UNUSED_PAD src0_sel:WORD_0 src1_sel:DWORD
	ds_read_b128 v[65:68], v192 offset:8064
	v_add3_u32 v174, 0, v69, v70
	ds_read_b128 v[69:72], v192 offset:16128
	v_mul_u32_u24_e32 v73, 0xd80, v73
	v_mul_u32_u24_e32 v74, 0xd80, v74
	v_lshlrev_b32_sdwa v77, v89, v77 dst_sel:DWORD dst_unused:UNUSED_PAD src0_sel:DWORD src1_sel:WORD_0
	v_lshlrev_b32_sdwa v78, v89, v78 dst_sel:DWORD dst_unused:UNUSED_PAD src0_sel:DWORD src1_sel:WORD_0
	v_lshlrev_b32_sdwa v75, v89, v75 dst_sel:DWORD dst_unused:UNUSED_PAD src0_sel:DWORD src1_sel:BYTE_0
	v_lshlrev_b32_sdwa v76, v89, v76 dst_sel:DWORD dst_unused:UNUSED_PAD src0_sel:DWORD src1_sel:BYTE_0
	v_lshl_add_u32 v177, v64, 4, 0
	v_add3_u32 v175, 0, v73, v77
	v_add3_u32 v176, 0, v74, v78
	;; [unrolled: 1-line block ×4, first 2 shown]
	ds_read_b128 v[73:76], v192 offset:9072
	ds_read_b128 v[77:80], v192 offset:17136
	;; [unrolled: 1-line block ×14, first 2 shown]
	ds_read_b128 v[129:132], v192
	ds_read_b128 v[133:136], v192 offset:1008
	ds_read_b128 v[137:140], v192 offset:2016
	;; [unrolled: 1-line block ×5, first 2 shown]
	v_cmp_gt_u32_e64 s0, 27, v186
	s_waitcnt vmcnt(15) lgkmcnt(21)
	v_mul_f64 v[153:154], v[67:68], v[58:59]
	v_mul_f64 v[58:59], v[65:66], v[58:59]
	s_waitcnt vmcnt(14) lgkmcnt(20)
	v_mul_f64 v[155:156], v[71:72], v[46:47]
	v_mul_f64 v[46:47], v[69:70], v[46:47]
	s_waitcnt vmcnt(13) lgkmcnt(18)
	v_mul_f64 v[159:160], v[79:80], v[50:51]
	s_waitcnt vmcnt(12)
	v_mul_f64 v[157:158], v[75:76], v[54:55]
	v_mul_f64 v[54:55], v[73:74], v[54:55]
	;; [unrolled: 1-line block ×3, first 2 shown]
	s_waitcnt vmcnt(10) lgkmcnt(17)
	v_mul_f64 v[161:162], v[83:84], v[42:43]
	v_mul_f64 v[42:43], v[81:82], v[42:43]
	s_waitcnt vmcnt(9) lgkmcnt(15)
	v_mul_f64 v[163:164], v[91:92], v[30:31]
	v_mul_f64 v[30:31], v[89:90], v[30:31]
	v_fma_f64 v[64:65], v[65:66], v[56:57], -v[153:154]
	v_fma_f64 v[56:57], v[67:68], v[56:57], v[58:59]
	s_waitcnt vmcnt(7)
	v_mul_f64 v[58:59], v[87:88], v[38:39]
	v_mul_f64 v[38:39], v[85:86], v[38:39]
	s_waitcnt vmcnt(6) lgkmcnt(14)
	v_mul_f64 v[66:67], v[95:96], v[2:3]
	v_mul_f64 v[2:3], v[93:94], v[2:3]
	v_fma_f64 v[68:69], v[69:70], v[44:45], -v[155:156]
	v_fma_f64 v[44:45], v[71:72], v[44:45], v[46:47]
	s_waitcnt lgkmcnt(13)
	v_mul_f64 v[46:47], v[99:100], v[18:19]
	v_mul_f64 v[18:19], v[97:98], v[18:19]
	s_waitcnt lgkmcnt(11)
	v_mul_f64 v[70:71], v[107:108], v[14:15]
	v_mul_f64 v[14:15], v[105:106], v[14:15]
	v_fma_f64 v[72:73], v[73:74], v[52:53], -v[157:158]
	v_fma_f64 v[52:53], v[75:76], v[52:53], v[54:55]
	s_waitcnt vmcnt(5)
	v_mul_f64 v[54:55], v[103:104], v[26:27]
	v_mul_f64 v[74:75], v[101:102], v[26:27]
	s_waitcnt vmcnt(4) lgkmcnt(10)
	v_mul_f64 v[153:154], v[111:112], v[22:23]
	v_mul_f64 v[22:23], v[109:110], v[22:23]
	v_fma_f64 v[76:77], v[77:78], v[48:49], -v[159:160]
	v_fma_f64 v[48:49], v[79:80], v[48:49], v[50:51]
	s_waitcnt vmcnt(3) lgkmcnt(9)
	v_mul_f64 v[50:51], v[115:116], v[10:11]
	v_mul_f64 v[10:11], v[113:114], v[10:11]
	s_waitcnt vmcnt(2) lgkmcnt(7)
	v_mul_f64 v[78:79], v[123:124], v[6:7]
	v_mul_f64 v[6:7], v[121:122], v[6:7]
	v_fma_f64 v[80:81], v[81:82], v[40:41], -v[161:162]
	v_fma_f64 v[40:41], v[83:84], v[40:41], v[42:43]
	s_waitcnt vmcnt(1)
	v_mul_f64 v[42:43], v[119:120], v[34:35]
	v_mul_f64 v[82:83], v[117:118], v[34:35]
	s_waitcnt vmcnt(0) lgkmcnt(6)
	v_mul_f64 v[155:156], v[127:128], v[62:63]
	v_mul_f64 v[62:63], v[125:126], v[62:63]
	v_fma_f64 v[89:90], v[89:90], v[28:29], -v[163:164]
	v_fma_f64 v[30:31], v[91:92], v[28:29], v[30:31]
	v_fma_f64 v[58:59], v[85:86], v[36:37], -v[58:59]
	v_fma_f64 v[38:39], v[87:88], v[36:37], v[38:39]
	;; [unrolled: 2-line block ×11, first 2 shown]
	v_add_f64 v[20:21], v[64:65], v[68:69]
	v_add_f64 v[22:23], v[56:57], v[44:45]
	ds_read_b128 v[26:29], v192 offset:6048
	ds_read_b128 v[34:37], v192 offset:7056
	s_waitcnt lgkmcnt(7)
	v_add_f64 v[62:63], v[129:130], v[64:65]
	v_add_f64 v[74:75], v[72:73], v[76:77]
	;; [unrolled: 1-line block ×3, first 2 shown]
	s_waitcnt lgkmcnt(6)
	v_add_f64 v[84:85], v[133:134], v[72:73]
	v_add_f64 v[86:87], v[80:81], v[89:90]
	;; [unrolled: 1-line block ×4, first 2 shown]
	s_waitcnt lgkmcnt(5)
	v_add_f64 v[93:94], v[139:140], v[40:41]
	v_add_f64 v[97:98], v[40:41], -v[30:31]
	v_add_f64 v[40:41], v[58:59], v[66:67]
	v_add_f64 v[99:100], v[38:39], v[0:1]
	s_waitcnt lgkmcnt(4)
	v_add_f64 v[101:102], v[143:144], v[38:39]
	v_add_f64 v[103:104], v[141:142], v[58:59]
	v_add_f64 v[105:106], v[38:39], -v[0:1]
	v_add_f64 v[107:108], v[58:59], -v[66:67]
	v_add_f64 v[38:39], v[2:3], v[46:47]
	v_add_f64 v[58:59], v[16:17], v[70:71]
	;; [unrolled: 1-line block ×3, first 2 shown]
	s_waitcnt lgkmcnt(3)
	v_add_f64 v[111:112], v[145:146], v[2:3]
	v_add_f64 v[115:116], v[2:3], -v[46:47]
	v_add_f64 v[2:3], v[12:13], v[24:25]
	v_add_f64 v[117:118], v[14:15], v[54:55]
	;; [unrolled: 1-line block ×5, first 2 shown]
	s_waitcnt lgkmcnt(2)
	v_add_f64 v[121:122], v[149:150], v[12:13]
	s_waitcnt lgkmcnt(1)
	v_add_f64 v[157:158], v[26:27], v[18:19]
	v_add_f64 v[161:162], v[4:5], v[42:43]
	;; [unrolled: 1-line block ×3, first 2 shown]
	v_add_f64 v[56:57], v[56:57], -v[44:45]
	v_add_f64 v[64:65], v[64:65], -v[68:69]
	v_fma_f64 v[129:130], v[20:21], -0.5, v[129:130]
	v_fma_f64 v[131:132], v[22:23], -0.5, v[131:132]
	s_waitcnt lgkmcnt(0)
	v_add_f64 v[167:168], v[34:35], v[4:5]
	v_add_f64 v[52:53], v[52:53], -v[48:49]
	v_add_f64 v[72:73], v[72:73], -v[76:77]
	;; [unrolled: 1-line block ×3, first 2 shown]
	v_add_f64 v[4:5], v[62:63], v[68:69]
	v_fma_f64 v[62:63], v[74:75], -0.5, v[133:134]
	v_fma_f64 v[68:69], v[78:79], -0.5, v[135:136]
	v_add_f64 v[155:156], v[28:29], v[8:9]
	v_add_f64 v[80:81], v[80:81], -v[89:90]
	v_add_f64 v[119:120], v[151:152], v[14:15]
	v_add_f64 v[125:126], v[12:13], -v[24:25]
	v_add_f64 v[12:13], v[84:85], v[76:77]
	v_fma_f64 v[74:75], v[86:87], -0.5, v[137:138]
	v_fma_f64 v[76:77], v[91:92], -0.5, v[139:140]
	v_add_f64 v[165:166], v[36:37], v[6:7]
	v_add_f64 v[123:124], v[14:15], -v[54:55]
	v_add_f64 v[14:15], v[82:83], v[48:49]
	v_fma_f64 v[78:79], v[40:41], -0.5, v[141:142]
	v_fma_f64 v[82:83], v[99:100], -0.5, v[143:144]
	v_add_f64 v[109:110], v[147:148], v[16:17]
	v_add_f64 v[113:114], v[16:17], -v[70:71]
	v_fma_f64 v[84:85], v[38:39], -0.5, v[145:146]
	v_fma_f64 v[86:87], v[58:59], -0.5, v[147:148]
	v_add_f64 v[16:17], v[95:96], v[89:90]
	v_fma_f64 v[88:89], v[2:3], -0.5, v[149:150]
	v_fma_f64 v[90:91], v[117:118], -0.5, v[151:152]
	v_add_f64 v[8:9], v[8:9], -v[50:51]
	v_add_f64 v[159:160], v[18:19], -v[10:11]
	v_add_f64 v[18:19], v[93:94], v[30:31]
	v_fma_f64 v[92:93], v[127:128], -0.5, v[26:27]
	v_fma_f64 v[28:29], v[153:154], -0.5, v[28:29]
	v_add_f64 v[169:170], v[6:7], -v[60:61]
	v_add_f64 v[6:7], v[32:33], v[44:45]
	v_add_f64 v[38:39], v[121:122], v[24:25]
	v_add_f64 v[24:25], v[157:158], v[10:11]
	v_fma_f64 v[10:11], v[161:162], -0.5, v[34:35]
	v_fma_f64 v[94:95], v[163:164], -0.5, v[36:37]
	v_fma_f64 v[34:35], v[56:57], s[4:5], v[129:130]
	v_fma_f64 v[36:37], v[64:65], s[6:7], v[131:132]
	v_add_f64 v[22:23], v[101:102], v[0:1]
	v_add_f64 v[0:1], v[167:168], v[42:43]
	v_fma_f64 v[42:43], v[56:57], s[6:7], v[129:130]
	v_fma_f64 v[44:45], v[64:65], s[4:5], v[131:132]
	v_add_f64 v[30:31], v[111:112], v[46:47]
	v_fma_f64 v[46:47], v[52:53], s[4:5], v[62:63]
	v_fma_f64 v[48:49], v[72:73], s[6:7], v[68:69]
	;; [unrolled: 3-line block ×6, first 2 shown]
	v_fma_f64 v[66:67], v[105:106], s[6:7], v[78:79]
	v_fma_f64 v[68:69], v[107:108], s[4:5], v[82:83]
	v_add_f64 v[32:33], v[109:110], v[70:71]
	v_fma_f64 v[70:71], v[113:114], s[4:5], v[84:85]
	v_fma_f64 v[72:73], v[115:116], s[6:7], v[86:87]
	;; [unrolled: 1-line block ×12, first 2 shown]
	s_barrier
	buffer_gl0_inv
	ds_write_b128 v192, v[4:7]
	v_fma_f64 v[4:5], v[169:170], s[4:5], v[10:11]
	v_fma_f64 v[6:7], v[171:172], s[6:7], v[94:95]
	;; [unrolled: 1-line block ×4, first 2 shown]
	ds_write_b128 v192, v[34:37] offset:1152
	ds_write_b128 v192, v[42:45] offset:2304
	ds_write_b128 v173, v[12:15]
	ds_write_b128 v173, v[46:49] offset:1152
	ds_write_b128 v173, v[50:53] offset:2304
	ds_write_b128 v178, v[16:19]
	;; [unrolled: 3-line block ×6, first 2 shown]
	ds_write_b128 v176, v[86:89] offset:1152
	ds_write_b128 v176, v[90:93] offset:2304
	;; [unrolled: 1-line block ×5, first 2 shown]
	s_waitcnt lgkmcnt(0)
	s_barrier
	buffer_gl0_inv
	ds_read_b128 v[36:39], v192
	ds_read_b128 v[32:35], v192 offset:1008
	ds_read_b128 v[100:103], v192 offset:6912
	;; [unrolled: 1-line block ×20, first 2 shown]
                                        ; implicit-def: $vgpr26_vgpr27
                                        ; implicit-def: $vgpr22_vgpr23
                                        ; implicit-def: $vgpr18_vgpr19
                                        ; implicit-def: $vgpr14_vgpr15
	s_and_saveexec_b32 s1, s0
	s_cbranch_execz .LBB0_21
; %bb.20:
	ds_read_b128 v[0:3], v192 offset:3024
	ds_read_b128 v[4:7], v192 offset:6480
	;; [unrolled: 1-line block ×7, first 2 shown]
.LBB0_21:
	s_or_b32 exec_lo, exec_lo, s1
	v_mul_u32_u24_e32 v112, 6, v186
	s_mov_b32 s8, 0x37e14327
	s_mov_b32 s4, 0x36b3c0b5
	;; [unrolled: 1-line block ×4, first 2 shown]
	v_lshlrev_b32_e32 v112, 4, v112
	s_mov_b32 s9, 0x3fe948f6
	s_mov_b32 s5, 0x3fac98ee
	;; [unrolled: 1-line block ×4, first 2 shown]
	v_add_co_u32 v178, s1, s12, v112
	v_add_co_ci_u32_e64 v179, null, s13, 0, s1
	s_mov_b32 s14, 0xaaaaaaaa
	v_add_co_u32 v120, s1, 0x800, v178
	v_add_co_ci_u32_e64 v121, s1, 0, v179, s1
	v_add_co_u32 v122, s1, 0xd60, v178
	v_add_co_ci_u32_e64 v123, s1, 0, v179, s1
	v_add_co_u32 v128, s1, 0xda0, v178
	s_clause 0x1
	global_load_dwordx4 v[112:115], v[120:121], off offset:1376
	global_load_dwordx4 v[116:119], v[122:123], off offset:16
	v_add_co_ci_u32_e64 v129, s1, 0, v179, s1
	v_add_co_u32 v152, s1, 0x2000, v178
	s_clause 0x1
	global_load_dwordx4 v[132:135], v[122:123], off offset:32
	global_load_dwordx4 v[124:127], v[122:123], off offset:48
	v_add_co_ci_u32_e64 v153, s1, 0, v179, s1
	v_add_co_u32 v144, s1, 0x2500, v178
	v_add_co_ci_u32_e64 v145, s1, 0, v179, s1
	s_clause 0x3
	global_load_dwordx4 v[136:139], v[120:121], off offset:1440
	global_load_dwordx4 v[128:131], v[128:129], off offset:16
	;; [unrolled: 1-line block ×4, first 2 shown]
	v_add_co_u32 v156, s1, 0x2540, v178
	v_add_co_ci_u32_e64 v157, s1, 0, v179, s1
	v_add_co_u32 v176, s1, 0x3800, v178
	v_add_co_ci_u32_e64 v177, s1, 0, v179, s1
	;; [unrolled: 2-line block ×3, first 2 shown]
	s_clause 0x3
	global_load_dwordx4 v[148:151], v[144:145], off offset:32
	global_load_dwordx4 v[144:147], v[144:145], off offset:48
	;; [unrolled: 1-line block ×4, first 2 shown]
	v_add_co_u32 v180, s1, 0x3ce0, v178
	v_add_co_ci_u32_e64 v181, s1, 0, v179, s1
	s_clause 0x5
	global_load_dwordx4 v[160:163], v[176:177], off offset:1184
	global_load_dwordx4 v[164:167], v[168:169], off offset:16
	;; [unrolled: 1-line block ×6, first 2 shown]
	s_mov_b32 s18, 0x5476071b
	s_mov_b32 s22, 0xb247c609
	;; [unrolled: 1-line block ×11, first 2 shown]
	s_waitcnt vmcnt(0) lgkmcnt(0)
	s_barrier
	buffer_gl0_inv
	v_mul_f64 v[193:194], v[110:111], v[114:115]
	v_mul_f64 v[114:115], v[108:109], v[114:115]
	;; [unrolled: 1-line block ×14, first 2 shown]
	v_fma_f64 v[108:109], v[108:109], v[112:113], -v[193:194]
	v_fma_f64 v[110:111], v[110:111], v[112:113], v[114:115]
	v_mul_f64 v[112:113], v[74:75], v[142:143]
	v_mul_f64 v[114:115], v[72:73], v[142:143]
	v_fma_f64 v[100:101], v[100:101], v[116:117], -v[195:196]
	v_fma_f64 v[102:103], v[102:103], v[116:117], v[118:119]
	v_mul_f64 v[116:117], v[50:51], v[146:147]
	v_mul_f64 v[118:119], v[48:49], v[146:147]
	v_mul_f64 v[146:147], v[90:91], v[154:155]
	v_mul_f64 v[154:155], v[88:89], v[154:155]
	v_fma_f64 v[104:105], v[104:105], v[132:133], -v[197:198]
	v_fma_f64 v[106:107], v[106:107], v[132:133], v[134:135]
	v_mul_f64 v[132:133], v[42:43], v[158:159]
	v_mul_f64 v[134:135], v[40:41], v[158:159]
	;; [unrolled: 1-line block ×6, first 2 shown]
	v_fma_f64 v[92:93], v[92:93], v[124:125], -v[199:200]
	v_fma_f64 v[94:95], v[94:95], v[124:125], v[126:127]
	v_mul_f64 v[124:125], v[58:59], v[166:167]
	v_mul_f64 v[126:127], v[56:57], v[166:167]
	v_fma_f64 v[96:97], v[96:97], v[136:137], -v[201:202]
	v_fma_f64 v[98:99], v[98:99], v[136:137], v[138:139]
	v_mul_f64 v[136:137], v[66:67], v[170:171]
	v_mul_f64 v[138:139], v[64:65], v[170:171]
	;; [unrolled: 1-line block ×4, first 2 shown]
	v_fma_f64 v[76:77], v[76:77], v[128:129], -v[203:204]
	v_fma_f64 v[78:79], v[78:79], v[128:129], v[130:131]
	v_mul_f64 v[128:129], v[46:47], v[182:183]
	v_mul_f64 v[130:131], v[44:45], v[182:183]
	;; [unrolled: 1-line block ×4, first 2 shown]
	v_fma_f64 v[80:81], v[80:81], v[120:121], -v[205:206]
	v_fma_f64 v[82:83], v[82:83], v[120:121], v[122:123]
	v_fma_f64 v[72:73], v[72:73], v[140:141], -v[112:113]
	v_fma_f64 v[74:75], v[74:75], v[140:141], v[114:115]
	v_fma_f64 v[88:89], v[88:89], v[152:153], -v[146:147]
	v_fma_f64 v[90:91], v[90:91], v[152:153], v[154:155]
	v_fma_f64 v[40:41], v[40:41], v[156:157], -v[132:133]
	v_fma_f64 v[42:43], v[42:43], v[156:157], v[134:135]
	v_fma_f64 v[84:85], v[84:85], v[148:149], -v[142:143]
	v_fma_f64 v[86:87], v[86:87], v[148:149], v[150:151]
	v_fma_f64 v[48:49], v[48:49], v[144:145], -v[116:117]
	v_fma_f64 v[50:51], v[50:51], v[144:145], v[118:119]
	v_fma_f64 v[52:53], v[52:53], v[160:161], -v[158:159]
	v_fma_f64 v[54:55], v[54:55], v[160:161], v[162:163]
	v_fma_f64 v[56:57], v[56:57], v[164:165], -v[124:125]
	v_fma_f64 v[58:59], v[58:59], v[164:165], v[126:127]
	v_fma_f64 v[68:69], v[68:69], v[176:177], -v[170:171]
	v_fma_f64 v[70:71], v[70:71], v[176:177], v[178:179]
	v_fma_f64 v[44:45], v[44:45], v[180:181], -v[128:129]
	v_fma_f64 v[46:47], v[46:47], v[180:181], v[130:131]
	v_fma_f64 v[60:61], v[60:61], v[172:173], -v[166:167]
	v_fma_f64 v[62:63], v[62:63], v[172:173], v[174:175]
	v_fma_f64 v[64:65], v[64:65], v[168:169], -v[136:137]
	v_fma_f64 v[66:67], v[66:67], v[168:169], v[138:139]
	v_add_f64 v[112:113], v[108:109], v[76:77]
	v_add_f64 v[114:115], v[110:111], v[78:79]
	v_add_f64 v[76:77], v[108:109], -v[76:77]
	v_add_f64 v[78:79], v[110:111], -v[78:79]
	v_add_f64 v[108:109], v[100:101], v[96:97]
	v_add_f64 v[110:111], v[102:103], v[98:99]
	v_add_f64 v[96:97], v[100:101], -v[96:97]
	v_add_f64 v[98:99], v[102:103], -v[98:99]
	;; [unrolled: 4-line block ×9, first 2 shown]
	v_add_f64 v[64:65], v[108:109], v[112:113]
	v_add_f64 v[66:67], v[110:111], v[114:115]
	;; [unrolled: 1-line block ×4, first 2 shown]
	v_add_f64 v[116:117], v[108:109], -v[112:113]
	v_add_f64 v[118:119], v[110:111], -v[114:115]
	;; [unrolled: 1-line block ×6, first 2 shown]
	v_add_f64 v[120:121], v[92:93], v[96:97]
	v_add_f64 v[122:123], v[94:95], v[98:99]
	v_add_f64 v[124:125], v[92:93], -v[96:97]
	v_add_f64 v[126:127], v[94:95], -v[98:99]
	v_add_f64 v[144:145], v[52:53], v[84:85]
	v_add_f64 v[146:147], v[54:55], v[86:87]
	v_add_f64 v[96:97], v[96:97], -v[76:77]
	v_add_f64 v[98:99], v[98:99], -v[78:79]
	;; [unrolled: 4-line block ×4, first 2 shown]
	v_add_f64 v[104:105], v[104:105], -v[88:89]
	v_add_f64 v[106:107], v[106:107], -v[90:91]
	;; [unrolled: 1-line block ×4, first 2 shown]
	v_add_f64 v[88:89], v[88:89], v[128:129]
	v_add_f64 v[90:91], v[90:91], v[130:131]
	v_add_f64 v[72:73], v[72:73], -v[40:41]
	v_add_f64 v[74:75], v[74:75], -v[42:43]
	;; [unrolled: 1-line block ×8, first 2 shown]
	v_add_f64 v[152:153], v[60:61], v[56:57]
	v_add_f64 v[154:155], v[62:63], v[58:59]
	v_add_f64 v[156:157], v[60:61], -v[56:57]
	v_add_f64 v[158:159], v[62:63], -v[58:59]
	v_add_f64 v[68:69], v[68:69], v[144:145]
	v_add_f64 v[70:71], v[70:71], v[146:147]
	v_add_f64 v[56:57], v[56:57], -v[44:45]
	v_add_f64 v[58:59], v[58:59], -v[46:47]
	;; [unrolled: 1-line block ×6, first 2 shown]
	v_add_f64 v[76:77], v[120:121], v[76:77]
	v_add_f64 v[78:79], v[122:123], v[78:79]
	v_mul_f64 v[100:101], v[112:113], s[8:9]
	v_mul_f64 v[102:103], v[114:115], s[8:9]
	;; [unrolled: 1-line block ×8, first 2 shown]
	v_add_f64 v[40:41], v[136:137], v[40:41]
	v_add_f64 v[42:43], v[138:139], v[42:43]
	v_mul_f64 v[136:137], v[140:141], s[16:17]
	v_mul_f64 v[138:139], v[142:143], s[16:17]
	v_add_f64 v[36:37], v[36:37], v[64:65]
	v_add_f64 v[38:39], v[38:39], v[66:67]
	v_mul_f64 v[104:105], v[104:105], s[8:9]
	v_mul_f64 v[106:107], v[106:107], s[8:9]
	;; [unrolled: 4-line block ×3, first 2 shown]
	v_mul_f64 v[140:141], v[72:73], s[6:7]
	v_mul_f64 v[142:143], v[74:75], s[6:7]
	v_add_f64 v[60:61], v[44:45], -v[60:61]
	v_add_f64 v[62:63], v[46:47], -v[62:63]
	v_add_f64 v[44:45], v[152:153], v[44:45]
	v_add_f64 v[46:47], v[154:155], v[46:47]
	v_mul_f64 v[84:85], v[84:85], s[8:9]
	v_mul_f64 v[86:87], v[86:87], s[8:9]
	;; [unrolled: 1-line block ×4, first 2 shown]
	v_add_f64 v[28:29], v[28:29], v[68:69]
	v_add_f64 v[30:31], v[30:31], v[70:71]
	v_mul_f64 v[144:145], v[52:53], s[4:5]
	v_mul_f64 v[146:147], v[54:55], s[4:5]
	;; [unrolled: 1-line block ×4, first 2 shown]
	v_fma_f64 v[108:109], v[108:109], s[4:5], v[100:101]
	v_fma_f64 v[110:111], v[110:111], s[4:5], v[102:103]
	v_fma_f64 v[112:113], v[116:117], s[18:19], -v[112:113]
	v_fma_f64 v[114:115], v[118:119], s[18:19], -v[114:115]
	;; [unrolled: 1-line block ×4, first 2 shown]
	v_fma_f64 v[116:117], v[92:93], s[22:23], v[120:121]
	v_fma_f64 v[118:119], v[94:95], s[22:23], v[122:123]
	v_fma_f64 v[96:97], v[96:97], s[6:7], -v[120:121]
	v_fma_f64 v[98:99], v[98:99], s[6:7], -v[122:123]
	;; [unrolled: 1-line block ×4, first 2 shown]
	v_fma_f64 v[124:125], v[48:49], s[22:23], v[136:137]
	v_fma_f64 v[126:127], v[50:51], s[22:23], v[138:139]
	v_fma_f64 v[72:73], v[72:73], s[6:7], -v[136:137]
	v_fma_f64 v[74:75], v[74:75], s[6:7], -v[138:139]
	v_fma_f64 v[64:65], v[64:65], s[14:15], v[36:37]
	v_fma_f64 v[66:67], v[66:67], s[14:15], v[38:39]
	;; [unrolled: 1-line block ×6, first 2 shown]
	v_fma_f64 v[120:121], v[132:133], s[18:19], -v[128:129]
	v_fma_f64 v[122:123], v[134:135], s[18:19], -v[130:131]
	;; [unrolled: 1-line block ×6, first 2 shown]
	v_fma_f64 v[52:53], v[52:53], s[4:5], v[84:85]
	v_fma_f64 v[54:55], v[54:55], s[4:5], v[86:87]
	;; [unrolled: 1-line block ×6, first 2 shown]
	v_fma_f64 v[128:129], v[148:149], s[18:19], -v[144:145]
	v_fma_f64 v[130:131], v[150:151], s[18:19], -v[146:147]
	;; [unrolled: 1-line block ×8, first 2 shown]
	v_fma_f64 v[116:117], v[76:77], s[24:25], v[116:117]
	v_fma_f64 v[118:119], v[78:79], s[24:25], v[118:119]
	;; [unrolled: 1-line block ×10, first 2 shown]
	v_add_f64 v[72:73], v[108:109], v[64:65]
	v_add_f64 v[74:75], v[110:111], v[66:67]
	;; [unrolled: 1-line block ×8, first 2 shown]
	v_fma_f64 v[136:137], v[40:41], s[24:25], v[48:49]
	v_fma_f64 v[138:139], v[42:43], s[24:25], v[50:51]
	v_add_f64 v[80:81], v[120:121], v[88:89]
	v_add_f64 v[82:83], v[122:123], v[90:91]
	;; [unrolled: 1-line block ×4, first 2 shown]
	v_fma_f64 v[132:133], v[44:45], s[24:25], v[132:133]
	v_fma_f64 v[134:135], v[46:47], s[24:25], v[134:135]
	v_add_f64 v[120:121], v[52:53], v[68:69]
	v_add_f64 v[122:123], v[54:55], v[70:71]
	v_fma_f64 v[112:113], v[44:45], s[24:25], v[60:61]
	v_fma_f64 v[114:115], v[46:47], s[24:25], v[62:63]
	v_add_f64 v[104:105], v[128:129], v[68:69]
	v_add_f64 v[106:107], v[130:131], v[70:71]
	;; [unrolled: 1-line block ×4, first 2 shown]
	v_fma_f64 v[108:109], v[44:45], s[24:25], v[56:57]
	v_fma_f64 v[110:111], v[46:47], s[24:25], v[58:59]
	v_add_f64 v[40:41], v[118:119], v[72:73]
	v_add_f64 v[42:43], v[74:75], -v[116:117]
	v_add_f64 v[44:45], v[78:79], v[100:101]
	v_add_f64 v[46:47], v[102:103], -v[76:77]
	v_add_f64 v[48:49], v[64:65], -v[98:99]
	v_add_f64 v[50:51], v[96:97], v[66:67]
	v_add_f64 v[52:53], v[98:99], v[64:65]
	v_add_f64 v[54:55], v[66:67], -v[96:97]
	v_add_f64 v[56:57], v[100:101], -v[78:79]
	v_add_f64 v[58:59], v[76:77], v[102:103]
	v_add_f64 v[60:61], v[72:73], -v[118:119]
	v_add_f64 v[62:63], v[116:117], v[74:75]
	v_add_f64 v[64:65], v[94:95], v[140:141]
	v_add_f64 v[66:67], v[142:143], -v[92:93]
	v_add_f64 v[68:69], v[138:139], v[88:89]
	v_add_f64 v[70:71], v[90:91], -v[136:137]
	v_add_f64 v[72:73], v[80:81], -v[126:127]
	v_add_f64 v[74:75], v[124:125], v[82:83]
	v_add_f64 v[76:77], v[126:127], v[80:81]
	v_add_f64 v[78:79], v[82:83], -v[124:125]
	v_add_f64 v[80:81], v[88:89], -v[138:139]
	v_add_f64 v[82:83], v[136:137], v[90:91]
	v_add_f64 v[84:85], v[140:141], -v[94:95]
	v_add_f64 v[86:87], v[92:93], v[142:143]
	;; [unrolled: 12-line block ×3, first 2 shown]
	ds_write_b128 v192, v[36:39]
	ds_write_b128 v192, v[32:35] offset:1008
	ds_write_b128 v192, v[28:31] offset:2016
	;; [unrolled: 1-line block ×20, first 2 shown]
	s_and_saveexec_b32 s1, s0
	s_cbranch_execz .LBB0_23
; %bb.22:
	v_subrev_nc_u32_e32 v28, 27, v186
	v_cndmask_b32_e64 v28, v28, v187, s0
	v_mul_i32_i24_e32 v190, 6, v28
	v_lshlrev_b64 v[28:29], 4, v[190:191]
	v_add_co_u32 v30, s0, s12, v28
	v_add_co_ci_u32_e64 v31, s0, s13, v29, s0
	v_add_co_u32 v36, s0, 0x800, v30
	v_add_co_ci_u32_e64 v37, s0, 0, v31, s0
	;; [unrolled: 2-line block ×4, first 2 shown]
	s_clause 0x5
	global_load_dwordx4 v[28:31], v[28:29], off offset:16
	global_load_dwordx4 v[32:35], v[36:37], off offset:1376
	;; [unrolled: 1-line block ×6, first 2 shown]
	s_waitcnt vmcnt(5)
	v_mul_f64 v[52:53], v[24:25], v[30:31]
	s_waitcnt vmcnt(4)
	v_mul_f64 v[54:55], v[4:5], v[34:35]
	;; [unrolled: 2-line block ×4, first 2 shown]
	v_mul_f64 v[34:35], v[6:7], v[34:35]
	v_mul_f64 v[30:31], v[26:27], v[30:31]
	;; [unrolled: 1-line block ×4, first 2 shown]
	s_waitcnt vmcnt(1)
	v_mul_f64 v[60:61], v[18:19], v[46:47]
	s_waitcnt vmcnt(0)
	v_mul_f64 v[62:63], v[14:15], v[50:51]
	v_mul_f64 v[50:51], v[12:13], v[50:51]
	;; [unrolled: 1-line block ×3, first 2 shown]
	v_fma_f64 v[26:27], v[26:27], v[28:29], v[52:53]
	v_fma_f64 v[6:7], v[6:7], v[32:33], v[54:55]
	;; [unrolled: 1-line block ×4, first 2 shown]
	v_fma_f64 v[4:5], v[4:5], v[32:33], -v[34:35]
	v_fma_f64 v[24:25], v[24:25], v[28:29], -v[30:31]
	;; [unrolled: 1-line block ×6, first 2 shown]
	v_fma_f64 v[14:15], v[14:15], v[48:49], v[50:51]
	v_fma_f64 v[18:19], v[18:19], v[44:45], v[46:47]
	v_add_f64 v[28:29], v[6:7], v[26:27]
	v_add_f64 v[6:7], v[6:7], -v[26:27]
	v_add_f64 v[30:31], v[10:11], v[22:23]
	v_add_f64 v[10:11], v[10:11], -v[22:23]
	;; [unrolled: 2-line block ×4, first 2 shown]
	v_add_f64 v[36:37], v[16:17], -v[12:13]
	v_add_f64 v[12:13], v[12:13], v[16:17]
	v_add_f64 v[20:21], v[14:15], v[18:19]
	v_add_f64 v[14:15], v[18:19], -v[14:15]
	v_add_f64 v[16:17], v[30:31], v[28:29]
	v_add_f64 v[42:43], v[10:11], -v[6:7]
	;; [unrolled: 2-line block ×3, first 2 shown]
	v_add_f64 v[22:23], v[36:37], -v[8:9]
	v_add_f64 v[26:27], v[32:33], -v[12:13]
	;; [unrolled: 1-line block ×5, first 2 shown]
	v_add_f64 v[8:9], v[36:37], v[8:9]
	v_add_f64 v[10:11], v[14:15], v[10:11]
	v_add_f64 v[14:15], v[6:7], -v[14:15]
	v_add_f64 v[28:29], v[30:31], -v[28:29]
	;; [unrolled: 1-line block ×3, first 2 shown]
	v_add_f64 v[16:17], v[20:21], v[16:17]
	v_add_f64 v[20:21], v[20:21], -v[30:31]
	v_mul_f64 v[46:47], v[42:43], s[6:7]
	v_add_f64 v[18:19], v[12:13], v[18:19]
	v_add_f64 v[12:13], v[12:13], -v[34:35]
	v_mul_f64 v[22:23], v[22:23], s[16:17]
	v_mul_f64 v[26:27], v[26:27], s[8:9]
	v_mul_f64 v[24:25], v[24:25], s[8:9]
	v_mul_f64 v[36:37], v[38:39], s[6:7]
	v_mul_f64 v[40:41], v[40:41], s[16:17]
	v_add_f64 v[4:5], v[8:9], v[4:5]
	v_add_f64 v[6:7], v[10:11], v[6:7]
	v_add_f64 v[2:3], v[2:3], v[16:17]
	v_mul_f64 v[30:31], v[20:21], s[4:5]
	v_add_f64 v[0:1], v[0:1], v[18:19]
	v_mul_f64 v[34:35], v[12:13], s[4:5]
	v_fma_f64 v[8:9], v[44:45], s[22:23], v[22:23]
	v_fma_f64 v[12:13], v[12:13], s[4:5], v[26:27]
	;; [unrolled: 1-line block ×3, first 2 shown]
	v_fma_f64 v[20:21], v[44:45], s[26:27], -v[36:37]
	v_fma_f64 v[22:23], v[38:39], s[6:7], -v[22:23]
	;; [unrolled: 1-line block ×5, first 2 shown]
	v_fma_f64 v[16:17], v[16:17], s[14:15], v[2:3]
	v_fma_f64 v[28:29], v[28:29], s[18:19], -v[30:31]
	v_fma_f64 v[30:31], v[14:15], s[22:23], v[40:41]
	v_fma_f64 v[14:15], v[14:15], s[26:27], -v[46:47]
	;; [unrolled: 2-line block ×3, first 2 shown]
	v_fma_f64 v[8:9], v[4:5], s[24:25], v[8:9]
	v_fma_f64 v[20:21], v[4:5], s[24:25], v[20:21]
	v_fma_f64 v[4:5], v[4:5], s[24:25], v[22:23]
	v_fma_f64 v[36:37], v[6:7], s[24:25], v[36:37]
	v_add_f64 v[34:35], v[10:11], v[16:17]
	v_add_f64 v[22:23], v[24:25], v[16:17]
	;; [unrolled: 1-line block ×3, first 2 shown]
	v_fma_f64 v[28:29], v[6:7], s[24:25], v[30:31]
	v_add_f64 v[38:39], v[12:13], v[18:19]
	v_fma_f64 v[30:31], v[6:7], s[24:25], v[14:15]
	v_add_f64 v[40:41], v[26:27], v[18:19]
	v_add_f64 v[12:13], v[32:33], v[18:19]
	v_add_f64 v[26:27], v[34:35], -v[8:9]
	v_add_f64 v[10:11], v[20:21], v[22:23]
	v_add_f64 v[22:23], v[22:23], -v[20:21]
	v_add_f64 v[14:15], v[16:17], -v[4:5]
	v_add_f64 v[24:25], v[28:29], v[38:39]
	v_add_f64 v[18:19], v[4:5], v[16:17]
	;; [unrolled: 1-line block ×3, first 2 shown]
	v_add_f64 v[16:17], v[12:13], -v[36:37]
	v_add_f64 v[12:13], v[36:37], v[12:13]
	v_add_f64 v[6:7], v[8:9], v[34:35]
	v_add_f64 v[8:9], v[40:41], -v[30:31]
	v_add_f64 v[4:5], v[38:39], -v[28:29]
	ds_write_b128 v192, v[0:3] offset:3024
	ds_write_b128 v192, v[24:27] offset:6480
	;; [unrolled: 1-line block ×7, first 2 shown]
.LBB0_23:
	s_or_b32 exec_lo, exec_lo, s1
	s_waitcnt lgkmcnt(0)
	s_barrier
	buffer_gl0_inv
	s_and_saveexec_b32 s0, vcc_lo
	s_cbranch_execz .LBB0_25
; %bb.24:
	v_mul_lo_u32 v2, s3, v188
	v_mul_lo_u32 v3, s2, v189
	v_mad_u64_u32 v[0:1], null, s2, v188, 0
	v_mov_b32_e32 v187, 0
	v_lshl_add_u32 v30, v186, 4, 0
	v_lshlrev_b64 v[12:13], 4, v[184:185]
	v_add_nc_u32_e32 v14, 63, v186
	v_add_nc_u32_e32 v16, 0x7e, v186
	v_mov_b32_e32 v15, v187
	v_add3_u32 v1, v1, v3, v2
	v_lshlrev_b64 v[18:19], 4, v[186:187]
	v_mov_b32_e32 v17, v187
	v_add_nc_u32_e32 v22, 0xbd, v186
	v_mov_b32_e32 v23, v187
	v_lshlrev_b64 v[8:9], 4, v[0:1]
	ds_read_b128 v[0:3], v30
	ds_read_b128 v[4:7], v30 offset:1008
	v_lshlrev_b64 v[16:17], 4, v[16:17]
	v_add_nc_u32_e32 v26, 0x1b9, v186
	v_mov_b32_e32 v27, v187
	v_add_nc_u32_e32 v28, 0x1f8, v186
	v_add_co_u32 v20, vcc_lo, s10, v8
	v_add_co_ci_u32_e32 v21, vcc_lo, s11, v9, vcc_lo
	ds_read_b128 v[8:11], v30 offset:2016
	v_add_co_u32 v31, vcc_lo, v20, v12
	v_add_co_ci_u32_e32 v32, vcc_lo, v21, v13, vcc_lo
	v_lshlrev_b64 v[12:13], 4, v[14:15]
	v_add_co_u32 v18, vcc_lo, v31, v18
	v_add_co_ci_u32_e32 v19, vcc_lo, v32, v19, vcc_lo
	v_mov_b32_e32 v29, v187
	v_add_co_u32 v20, vcc_lo, v31, v12
	v_add_co_ci_u32_e32 v21, vcc_lo, v32, v13, vcc_lo
	ds_read_b128 v[12:15], v30 offset:3024
	s_waitcnt lgkmcnt(3)
	global_store_dwordx4 v[18:19], v[0:3], off
	s_waitcnt lgkmcnt(2)
	global_store_dwordx4 v[20:21], v[4:7], off
	v_lshlrev_b64 v[0:1], 4, v[22:23]
	v_add_co_u32 v2, vcc_lo, v31, v16
	v_add_co_ci_u32_e32 v3, vcc_lo, v32, v17, vcc_lo
	v_add_nc_u32_e32 v4, 0xfc, v186
	v_add_co_u32 v0, vcc_lo, v31, v0
	v_add_co_ci_u32_e32 v1, vcc_lo, v32, v1, vcc_lo
	v_mov_b32_e32 v5, v187
	s_waitcnt lgkmcnt(1)
	global_store_dwordx4 v[2:3], v[8:11], off
	v_add_nc_u32_e32 v8, 0x13b, v186
	v_mov_b32_e32 v9, v187
	v_add_nc_u32_e32 v16, 0x17a, v186
	v_mov_b32_e32 v17, v187
	v_lshlrev_b64 v[26:27], 4, v[26:27]
	s_waitcnt lgkmcnt(0)
	global_store_dwordx4 v[0:1], v[12:15], off
	v_lshlrev_b64 v[12:13], 4, v[4:5]
	ds_read_b128 v[0:3], v30 offset:4032
	ds_read_b128 v[4:7], v30 offset:5040
	v_lshlrev_b64 v[14:15], 4, v[8:9]
	ds_read_b128 v[8:11], v30 offset:6048
	v_add_co_u32 v20, vcc_lo, v31, v12
	v_add_co_ci_u32_e32 v21, vcc_lo, v32, v13, vcc_lo
	v_lshlrev_b64 v[12:13], 4, v[16:17]
	v_add_co_u32 v22, vcc_lo, v31, v14
	v_add_co_ci_u32_e32 v23, vcc_lo, v32, v15, vcc_lo
	ds_read_b128 v[16:19], v30 offset:8064
	v_add_co_u32 v24, vcc_lo, v31, v12
	v_add_co_ci_u32_e32 v25, vcc_lo, v32, v13, vcc_lo
	ds_read_b128 v[12:15], v30 offset:7056
	s_waitcnt lgkmcnt(4)
	global_store_dwordx4 v[20:21], v[0:3], off
	s_waitcnt lgkmcnt(3)
	global_store_dwordx4 v[22:23], v[4:7], off
	;; [unrolled: 2-line block ×3, first 2 shown]
	v_lshlrev_b64 v[0:1], 4, v[28:29]
	v_add_co_u32 v2, vcc_lo, v31, v26
	v_add_co_ci_u32_e32 v3, vcc_lo, v32, v27, vcc_lo
	v_add_nc_u32_e32 v6, 0x237, v186
	v_add_co_u32 v4, vcc_lo, v31, v0
	v_add_co_ci_u32_e32 v5, vcc_lo, v32, v1, vcc_lo
	v_mov_b32_e32 v7, v187
	v_add_nc_u32_e32 v8, 0x276, v186
	v_mov_b32_e32 v9, v187
	s_waitcnt lgkmcnt(1)
	global_store_dwordx4 v[4:5], v[16:19], off
	v_add_nc_u32_e32 v16, 0x2b5, v186
	v_mov_b32_e32 v17, v187
	v_add_nc_u32_e32 v24, 0x2f4, v186
	v_mov_b32_e32 v25, v187
	s_waitcnt lgkmcnt(0)
	global_store_dwordx4 v[2:3], v[12:15], off
	v_lshlrev_b64 v[12:13], 4, v[6:7]
	ds_read_b128 v[0:3], v30 offset:9072
	v_lshlrev_b64 v[14:15], 4, v[8:9]
	ds_read_b128 v[4:7], v30 offset:10080
	ds_read_b128 v[8:11], v30 offset:11088
	v_lshlrev_b64 v[16:17], 4, v[16:17]
	v_add_nc_u32_e32 v28, 0x333, v186
	v_add_co_u32 v20, vcc_lo, v31, v12
	v_add_co_ci_u32_e32 v21, vcc_lo, v32, v13, vcc_lo
	v_add_co_u32 v22, vcc_lo, v31, v14
	v_add_co_ci_u32_e32 v23, vcc_lo, v32, v15, vcc_lo
	v_add_co_u32 v26, vcc_lo, v31, v16
	ds_read_b128 v[12:15], v30 offset:12096
	v_add_co_ci_u32_e32 v27, vcc_lo, v32, v17, vcc_lo
	ds_read_b128 v[16:19], v30 offset:13104
	v_lshlrev_b64 v[24:25], 4, v[24:25]
	s_waitcnt lgkmcnt(4)
	global_store_dwordx4 v[20:21], v[0:3], off
	s_waitcnt lgkmcnt(3)
	global_store_dwordx4 v[22:23], v[4:7], off
	;; [unrolled: 2-line block ×3, first 2 shown]
	v_lshlrev_b64 v[0:1], 4, v[28:29]
	v_add_nc_u32_e32 v4, 0x372, v186
	v_add_co_u32 v2, vcc_lo, v31, v24
	v_add_co_ci_u32_e32 v3, vcc_lo, v32, v25, vcc_lo
	v_add_co_u32 v0, vcc_lo, v31, v0
	v_add_co_ci_u32_e32 v1, vcc_lo, v32, v1, vcc_lo
	v_mov_b32_e32 v5, v187
	v_add_nc_u32_e32 v8, 0x3b1, v186
	v_mov_b32_e32 v9, v187
	s_waitcnt lgkmcnt(1)
	global_store_dwordx4 v[2:3], v[12:15], off
	v_add_nc_u32_e32 v28, 0x46e, v186
	s_waitcnt lgkmcnt(0)
	global_store_dwordx4 v[0:1], v[16:19], off
	v_lshlrev_b64 v[12:13], 4, v[4:5]
	ds_read_b128 v[0:3], v30 offset:14112
	ds_read_b128 v[4:7], v30 offset:15120
	v_lshlrev_b64 v[14:15], 4, v[8:9]
	ds_read_b128 v[8:11], v30 offset:16128
	v_add_nc_u32_e32 v16, 0x3f0, v186
	v_mov_b32_e32 v17, v187
	v_add_co_u32 v20, vcc_lo, v31, v12
	v_add_co_ci_u32_e32 v21, vcc_lo, v32, v13, vcc_lo
	v_lshlrev_b64 v[12:13], 4, v[16:17]
	v_add_nc_u32_e32 v16, 0x42f, v186
	v_add_co_u32 v22, vcc_lo, v31, v14
	v_add_co_ci_u32_e32 v23, vcc_lo, v32, v15, vcc_lo
	v_lshlrev_b64 v[26:27], 4, v[16:17]
	ds_read_b128 v[16:19], v30 offset:18144
	v_add_co_u32 v24, vcc_lo, v31, v12
	v_add_co_ci_u32_e32 v25, vcc_lo, v32, v13, vcc_lo
	ds_read_b128 v[12:15], v30 offset:17136
	s_waitcnt lgkmcnt(4)
	global_store_dwordx4 v[20:21], v[0:3], off
	s_waitcnt lgkmcnt(3)
	global_store_dwordx4 v[22:23], v[4:7], off
	;; [unrolled: 2-line block ×3, first 2 shown]
	v_lshlrev_b64 v[0:1], 4, v[28:29]
	v_add_co_u32 v2, vcc_lo, v31, v26
	v_add_co_ci_u32_e32 v3, vcc_lo, v32, v27, vcc_lo
	v_add_nc_u32_e32 v4, 0x4ad, v186
	v_mov_b32_e32 v5, v187
	v_add_co_u32 v6, vcc_lo, v31, v0
	v_add_co_ci_u32_e32 v7, vcc_lo, v32, v1, vcc_lo
	v_add_nc_u32_e32 v8, 0x4ec, v186
	v_mov_b32_e32 v9, v187
	v_lshlrev_b64 v[4:5], 4, v[4:5]
	s_waitcnt lgkmcnt(1)
	global_store_dwordx4 v[6:7], v[16:19], off
	v_add_nc_u32_e32 v24, 0x56a, v186
	v_mov_b32_e32 v25, v187
	v_lshlrev_b64 v[6:7], 4, v[8:9]
	s_waitcnt lgkmcnt(0)
	global_store_dwordx4 v[2:3], v[12:15], off
	v_add_co_u32 v20, vcc_lo, v31, v4
	v_add_nc_u32_e32 v12, 0x52b, v186
	v_mov_b32_e32 v13, v187
	v_add_co_ci_u32_e32 v21, vcc_lo, v32, v5, vcc_lo
	v_add_co_u32 v22, vcc_lo, v31, v6
	ds_read_b128 v[0:3], v30 offset:19152
	v_add_co_ci_u32_e32 v23, vcc_lo, v32, v7, vcc_lo
	ds_read_b128 v[4:7], v30 offset:20160
	ds_read_b128 v[8:11], v30 offset:21168
	v_lshlrev_b64 v[26:27], 4, v[12:13]
	ds_read_b128 v[12:15], v30 offset:22176
	ds_read_b128 v[16:19], v30 offset:23184
	v_add_nc_u32_e32 v186, 0x5a9, v186
	v_lshlrev_b64 v[24:25], 4, v[24:25]
	v_add_co_u32 v26, vcc_lo, v31, v26
	v_lshlrev_b64 v[28:29], 4, v[186:187]
	v_add_co_ci_u32_e32 v27, vcc_lo, v32, v27, vcc_lo
	v_add_co_u32 v24, vcc_lo, v31, v24
	v_add_co_ci_u32_e32 v25, vcc_lo, v32, v25, vcc_lo
	v_add_co_u32 v28, vcc_lo, v31, v28
	v_add_co_ci_u32_e32 v29, vcc_lo, v32, v29, vcc_lo
	s_waitcnt lgkmcnt(4)
	global_store_dwordx4 v[20:21], v[0:3], off
	s_waitcnt lgkmcnt(3)
	global_store_dwordx4 v[22:23], v[4:7], off
	;; [unrolled: 2-line block ×5, first 2 shown]
.LBB0_25:
	s_endpgm
	.section	.rodata,"a",@progbits
	.p2align	6, 0x0
	.amdhsa_kernel fft_rtc_fwd_len1512_factors_2_2_2_3_3_3_7_wgs_63_tpt_63_halfLds_dp_op_CI_CI_unitstride_sbrr_C2R_dirReg
		.amdhsa_group_segment_fixed_size 0
		.amdhsa_private_segment_fixed_size 0
		.amdhsa_kernarg_size 104
		.amdhsa_user_sgpr_count 6
		.amdhsa_user_sgpr_private_segment_buffer 1
		.amdhsa_user_sgpr_dispatch_ptr 0
		.amdhsa_user_sgpr_queue_ptr 0
		.amdhsa_user_sgpr_kernarg_segment_ptr 1
		.amdhsa_user_sgpr_dispatch_id 0
		.amdhsa_user_sgpr_flat_scratch_init 0
		.amdhsa_user_sgpr_private_segment_size 0
		.amdhsa_wavefront_size32 1
		.amdhsa_uses_dynamic_stack 0
		.amdhsa_system_sgpr_private_segment_wavefront_offset 0
		.amdhsa_system_sgpr_workgroup_id_x 1
		.amdhsa_system_sgpr_workgroup_id_y 0
		.amdhsa_system_sgpr_workgroup_id_z 0
		.amdhsa_system_sgpr_workgroup_info 0
		.amdhsa_system_vgpr_workitem_id 0
		.amdhsa_next_free_vgpr 207
		.amdhsa_next_free_sgpr 28
		.amdhsa_reserve_vcc 1
		.amdhsa_reserve_flat_scratch 0
		.amdhsa_float_round_mode_32 0
		.amdhsa_float_round_mode_16_64 0
		.amdhsa_float_denorm_mode_32 3
		.amdhsa_float_denorm_mode_16_64 3
		.amdhsa_dx10_clamp 1
		.amdhsa_ieee_mode 1
		.amdhsa_fp16_overflow 0
		.amdhsa_workgroup_processor_mode 1
		.amdhsa_memory_ordered 1
		.amdhsa_forward_progress 0
		.amdhsa_shared_vgpr_count 0
		.amdhsa_exception_fp_ieee_invalid_op 0
		.amdhsa_exception_fp_denorm_src 0
		.amdhsa_exception_fp_ieee_div_zero 0
		.amdhsa_exception_fp_ieee_overflow 0
		.amdhsa_exception_fp_ieee_underflow 0
		.amdhsa_exception_fp_ieee_inexact 0
		.amdhsa_exception_int_div_zero 0
	.end_amdhsa_kernel
	.text
.Lfunc_end0:
	.size	fft_rtc_fwd_len1512_factors_2_2_2_3_3_3_7_wgs_63_tpt_63_halfLds_dp_op_CI_CI_unitstride_sbrr_C2R_dirReg, .Lfunc_end0-fft_rtc_fwd_len1512_factors_2_2_2_3_3_3_7_wgs_63_tpt_63_halfLds_dp_op_CI_CI_unitstride_sbrr_C2R_dirReg
                                        ; -- End function
	.section	.AMDGPU.csdata,"",@progbits
; Kernel info:
; codeLenInByte = 21944
; NumSgprs: 30
; NumVgprs: 207
; ScratchSize: 0
; MemoryBound: 0
; FloatMode: 240
; IeeeMode: 1
; LDSByteSize: 0 bytes/workgroup (compile time only)
; SGPRBlocks: 3
; VGPRBlocks: 25
; NumSGPRsForWavesPerEU: 30
; NumVGPRsForWavesPerEU: 207
; Occupancy: 4
; WaveLimiterHint : 1
; COMPUTE_PGM_RSRC2:SCRATCH_EN: 0
; COMPUTE_PGM_RSRC2:USER_SGPR: 6
; COMPUTE_PGM_RSRC2:TRAP_HANDLER: 0
; COMPUTE_PGM_RSRC2:TGID_X_EN: 1
; COMPUTE_PGM_RSRC2:TGID_Y_EN: 0
; COMPUTE_PGM_RSRC2:TGID_Z_EN: 0
; COMPUTE_PGM_RSRC2:TIDIG_COMP_CNT: 0
	.text
	.p2alignl 6, 3214868480
	.fill 48, 4, 3214868480
	.type	__hip_cuid_c4285dad38a9214e,@object ; @__hip_cuid_c4285dad38a9214e
	.section	.bss,"aw",@nobits
	.globl	__hip_cuid_c4285dad38a9214e
__hip_cuid_c4285dad38a9214e:
	.byte	0                               ; 0x0
	.size	__hip_cuid_c4285dad38a9214e, 1

	.ident	"AMD clang version 19.0.0git (https://github.com/RadeonOpenCompute/llvm-project roc-6.4.0 25133 c7fe45cf4b819c5991fe208aaa96edf142730f1d)"
	.section	".note.GNU-stack","",@progbits
	.addrsig
	.addrsig_sym __hip_cuid_c4285dad38a9214e
	.amdgpu_metadata
---
amdhsa.kernels:
  - .args:
      - .actual_access:  read_only
        .address_space:  global
        .offset:         0
        .size:           8
        .value_kind:     global_buffer
      - .offset:         8
        .size:           8
        .value_kind:     by_value
      - .actual_access:  read_only
        .address_space:  global
        .offset:         16
        .size:           8
        .value_kind:     global_buffer
      - .actual_access:  read_only
        .address_space:  global
        .offset:         24
        .size:           8
        .value_kind:     global_buffer
      - .actual_access:  read_only
        .address_space:  global
        .offset:         32
        .size:           8
        .value_kind:     global_buffer
      - .offset:         40
        .size:           8
        .value_kind:     by_value
      - .actual_access:  read_only
        .address_space:  global
        .offset:         48
        .size:           8
        .value_kind:     global_buffer
      - .actual_access:  read_only
        .address_space:  global
        .offset:         56
        .size:           8
        .value_kind:     global_buffer
      - .offset:         64
        .size:           4
        .value_kind:     by_value
      - .actual_access:  read_only
        .address_space:  global
        .offset:         72
        .size:           8
        .value_kind:     global_buffer
      - .actual_access:  read_only
        .address_space:  global
        .offset:         80
        .size:           8
        .value_kind:     global_buffer
      - .actual_access:  read_only
        .address_space:  global
        .offset:         88
        .size:           8
        .value_kind:     global_buffer
      - .actual_access:  write_only
        .address_space:  global
        .offset:         96
        .size:           8
        .value_kind:     global_buffer
    .group_segment_fixed_size: 0
    .kernarg_segment_align: 8
    .kernarg_segment_size: 104
    .language:       OpenCL C
    .language_version:
      - 2
      - 0
    .max_flat_workgroup_size: 63
    .name:           fft_rtc_fwd_len1512_factors_2_2_2_3_3_3_7_wgs_63_tpt_63_halfLds_dp_op_CI_CI_unitstride_sbrr_C2R_dirReg
    .private_segment_fixed_size: 0
    .sgpr_count:     30
    .sgpr_spill_count: 0
    .symbol:         fft_rtc_fwd_len1512_factors_2_2_2_3_3_3_7_wgs_63_tpt_63_halfLds_dp_op_CI_CI_unitstride_sbrr_C2R_dirReg.kd
    .uniform_work_group_size: 1
    .uses_dynamic_stack: false
    .vgpr_count:     207
    .vgpr_spill_count: 0
    .wavefront_size: 32
    .workgroup_processor_mode: 1
amdhsa.target:   amdgcn-amd-amdhsa--gfx1030
amdhsa.version:
  - 1
  - 2
...

	.end_amdgpu_metadata
